;; amdgpu-corpus repo=ROCm/rocFFT kind=compiled arch=gfx1030 opt=O3
	.text
	.amdgcn_target "amdgcn-amd-amdhsa--gfx1030"
	.amdhsa_code_object_version 6
	.protected	fft_rtc_back_len1701_factors_3_3_3_3_3_7_wgs_63_tpt_63_halfLds_sp_op_CI_CI_sbrr_dirReg ; -- Begin function fft_rtc_back_len1701_factors_3_3_3_3_3_7_wgs_63_tpt_63_halfLds_sp_op_CI_CI_sbrr_dirReg
	.globl	fft_rtc_back_len1701_factors_3_3_3_3_3_7_wgs_63_tpt_63_halfLds_sp_op_CI_CI_sbrr_dirReg
	.p2align	8
	.type	fft_rtc_back_len1701_factors_3_3_3_3_3_7_wgs_63_tpt_63_halfLds_sp_op_CI_CI_sbrr_dirReg,@function
fft_rtc_back_len1701_factors_3_3_3_3_3_7_wgs_63_tpt_63_halfLds_sp_op_CI_CI_sbrr_dirReg: ; @fft_rtc_back_len1701_factors_3_3_3_3_3_7_wgs_63_tpt_63_halfLds_sp_op_CI_CI_sbrr_dirReg
; %bb.0:
	s_clause 0x2
	s_load_dwordx4 s[16:19], s[4:5], 0x18
	s_load_dwordx4 s[8:11], s[4:5], 0x0
	;; [unrolled: 1-line block ×3, first 2 shown]
	v_mul_u32_u24_e32 v1, 0x411, v0
	v_mov_b32_e32 v7, 0
	v_mov_b32_e32 v5, 0
	;; [unrolled: 1-line block ×3, first 2 shown]
	s_waitcnt lgkmcnt(0)
	s_load_dwordx2 s[20:21], s[16:17], 0x0
	s_load_dwordx2 s[2:3], s[18:19], 0x0
	v_cmp_lt_u64_e64 s0, s[10:11], 2
	v_add_nc_u32_sdwa v9, s6, v1 dst_sel:DWORD dst_unused:UNUSED_PAD src0_sel:DWORD src1_sel:WORD_1
	v_mov_b32_e32 v10, v7
	s_and_b32 vcc_lo, exec_lo, s0
	s_cbranch_vccnz .LBB0_8
; %bb.1:
	s_load_dwordx2 s[0:1], s[4:5], 0x10
	v_mov_b32_e32 v5, 0
	v_mov_b32_e32 v6, 0
	s_add_u32 s6, s18, 8
	s_addc_u32 s7, s19, 0
	v_mov_b32_e32 v1, v5
	s_add_u32 s22, s16, 8
	v_mov_b32_e32 v2, v6
	s_addc_u32 s23, s17, 0
	s_mov_b64 s[26:27], 1
	s_waitcnt lgkmcnt(0)
	s_add_u32 s24, s0, 8
	s_addc_u32 s25, s1, 0
.LBB0_2:                                ; =>This Inner Loop Header: Depth=1
	s_load_dwordx2 s[28:29], s[24:25], 0x0
                                        ; implicit-def: $vgpr3_vgpr4
	s_mov_b32 s0, exec_lo
	s_waitcnt lgkmcnt(0)
	v_or_b32_e32 v8, s29, v10
	v_cmpx_ne_u64_e32 0, v[7:8]
	s_xor_b32 s1, exec_lo, s0
	s_cbranch_execz .LBB0_4
; %bb.3:                                ;   in Loop: Header=BB0_2 Depth=1
	v_cvt_f32_u32_e32 v3, s28
	v_cvt_f32_u32_e32 v4, s29
	s_sub_u32 s0, 0, s28
	s_subb_u32 s30, 0, s29
	v_fmac_f32_e32 v3, 0x4f800000, v4
	v_rcp_f32_e32 v3, v3
	v_mul_f32_e32 v3, 0x5f7ffffc, v3
	v_mul_f32_e32 v4, 0x2f800000, v3
	v_trunc_f32_e32 v4, v4
	v_fmac_f32_e32 v3, 0xcf800000, v4
	v_cvt_u32_f32_e32 v4, v4
	v_cvt_u32_f32_e32 v3, v3
	v_mul_lo_u32 v8, s0, v4
	v_mul_hi_u32 v11, s0, v3
	v_mul_lo_u32 v12, s30, v3
	v_add_nc_u32_e32 v8, v11, v8
	v_mul_lo_u32 v11, s0, v3
	v_add_nc_u32_e32 v8, v8, v12
	v_mul_hi_u32 v12, v3, v11
	v_mul_lo_u32 v13, v3, v8
	v_mul_hi_u32 v14, v3, v8
	v_mul_hi_u32 v15, v4, v11
	v_mul_lo_u32 v11, v4, v11
	v_mul_hi_u32 v16, v4, v8
	v_mul_lo_u32 v8, v4, v8
	v_add_co_u32 v12, vcc_lo, v12, v13
	v_add_co_ci_u32_e32 v13, vcc_lo, 0, v14, vcc_lo
	v_add_co_u32 v11, vcc_lo, v12, v11
	v_add_co_ci_u32_e32 v11, vcc_lo, v13, v15, vcc_lo
	v_add_co_ci_u32_e32 v12, vcc_lo, 0, v16, vcc_lo
	v_add_co_u32 v8, vcc_lo, v11, v8
	v_add_co_ci_u32_e32 v11, vcc_lo, 0, v12, vcc_lo
	v_add_co_u32 v3, vcc_lo, v3, v8
	v_add_co_ci_u32_e32 v4, vcc_lo, v4, v11, vcc_lo
	v_mul_hi_u32 v8, s0, v3
	v_mul_lo_u32 v12, s30, v3
	v_mul_lo_u32 v11, s0, v4
	v_add_nc_u32_e32 v8, v8, v11
	v_mul_lo_u32 v11, s0, v3
	v_add_nc_u32_e32 v8, v8, v12
	v_mul_hi_u32 v12, v3, v11
	v_mul_lo_u32 v13, v3, v8
	v_mul_hi_u32 v14, v3, v8
	v_mul_hi_u32 v15, v4, v11
	v_mul_lo_u32 v11, v4, v11
	v_mul_hi_u32 v16, v4, v8
	v_mul_lo_u32 v8, v4, v8
	v_add_co_u32 v12, vcc_lo, v12, v13
	v_add_co_ci_u32_e32 v13, vcc_lo, 0, v14, vcc_lo
	v_add_co_u32 v11, vcc_lo, v12, v11
	v_add_co_ci_u32_e32 v11, vcc_lo, v13, v15, vcc_lo
	v_add_co_ci_u32_e32 v12, vcc_lo, 0, v16, vcc_lo
	v_add_co_u32 v8, vcc_lo, v11, v8
	v_add_co_ci_u32_e32 v11, vcc_lo, 0, v12, vcc_lo
	v_add_co_u32 v8, vcc_lo, v3, v8
	v_add_co_ci_u32_e32 v13, vcc_lo, v4, v11, vcc_lo
	v_mul_hi_u32 v15, v9, v8
	v_mad_u64_u32 v[11:12], null, v10, v8, 0
	v_mad_u64_u32 v[3:4], null, v9, v13, 0
	v_mad_u64_u32 v[13:14], null, v10, v13, 0
	v_add_co_u32 v3, vcc_lo, v15, v3
	v_add_co_ci_u32_e32 v4, vcc_lo, 0, v4, vcc_lo
	v_add_co_u32 v3, vcc_lo, v3, v11
	v_add_co_ci_u32_e32 v3, vcc_lo, v4, v12, vcc_lo
	v_add_co_ci_u32_e32 v4, vcc_lo, 0, v14, vcc_lo
	v_add_co_u32 v8, vcc_lo, v3, v13
	v_add_co_ci_u32_e32 v11, vcc_lo, 0, v4, vcc_lo
	v_mul_lo_u32 v12, s29, v8
	v_mad_u64_u32 v[3:4], null, s28, v8, 0
	v_mul_lo_u32 v13, s28, v11
	v_sub_co_u32 v3, vcc_lo, v9, v3
	v_add3_u32 v4, v4, v13, v12
	v_sub_nc_u32_e32 v12, v10, v4
	v_subrev_co_ci_u32_e64 v12, s0, s29, v12, vcc_lo
	v_add_co_u32 v13, s0, v8, 2
	v_add_co_ci_u32_e64 v14, s0, 0, v11, s0
	v_sub_co_u32 v15, s0, v3, s28
	v_sub_co_ci_u32_e32 v4, vcc_lo, v10, v4, vcc_lo
	v_subrev_co_ci_u32_e64 v12, s0, 0, v12, s0
	v_cmp_le_u32_e32 vcc_lo, s28, v15
	v_cmp_eq_u32_e64 s0, s29, v4
	v_cndmask_b32_e64 v15, 0, -1, vcc_lo
	v_cmp_le_u32_e32 vcc_lo, s29, v12
	v_cndmask_b32_e64 v16, 0, -1, vcc_lo
	v_cmp_le_u32_e32 vcc_lo, s28, v3
	;; [unrolled: 2-line block ×3, first 2 shown]
	v_cndmask_b32_e64 v17, 0, -1, vcc_lo
	v_cmp_eq_u32_e32 vcc_lo, s29, v12
	v_cndmask_b32_e64 v3, v17, v3, s0
	v_cndmask_b32_e32 v12, v16, v15, vcc_lo
	v_add_co_u32 v15, vcc_lo, v8, 1
	v_add_co_ci_u32_e32 v16, vcc_lo, 0, v11, vcc_lo
	v_cmp_ne_u32_e32 vcc_lo, 0, v12
	v_cndmask_b32_e32 v4, v16, v14, vcc_lo
	v_cndmask_b32_e32 v12, v15, v13, vcc_lo
	v_cmp_ne_u32_e32 vcc_lo, 0, v3
	v_cndmask_b32_e32 v4, v11, v4, vcc_lo
	v_cndmask_b32_e32 v3, v8, v12, vcc_lo
.LBB0_4:                                ;   in Loop: Header=BB0_2 Depth=1
	s_andn2_saveexec_b32 s0, s1
	s_cbranch_execz .LBB0_6
; %bb.5:                                ;   in Loop: Header=BB0_2 Depth=1
	v_cvt_f32_u32_e32 v3, s28
	s_sub_i32 s1, 0, s28
	v_rcp_iflag_f32_e32 v3, v3
	v_mul_f32_e32 v3, 0x4f7ffffe, v3
	v_cvt_u32_f32_e32 v3, v3
	v_mul_lo_u32 v4, s1, v3
	v_mul_hi_u32 v4, v3, v4
	v_add_nc_u32_e32 v3, v3, v4
	v_mul_hi_u32 v3, v9, v3
	v_mul_lo_u32 v4, v3, s28
	v_add_nc_u32_e32 v8, 1, v3
	v_sub_nc_u32_e32 v4, v9, v4
	v_subrev_nc_u32_e32 v11, s28, v4
	v_cmp_le_u32_e32 vcc_lo, s28, v4
	v_cndmask_b32_e32 v4, v4, v11, vcc_lo
	v_cndmask_b32_e32 v3, v3, v8, vcc_lo
	v_cmp_le_u32_e32 vcc_lo, s28, v4
	v_add_nc_u32_e32 v8, 1, v3
	v_mov_b32_e32 v4, v7
	v_cndmask_b32_e32 v3, v3, v8, vcc_lo
.LBB0_6:                                ;   in Loop: Header=BB0_2 Depth=1
	s_or_b32 exec_lo, exec_lo, s0
	v_mul_lo_u32 v8, v4, s28
	v_mul_lo_u32 v13, v3, s29
	s_load_dwordx2 s[0:1], s[22:23], 0x0
	v_mad_u64_u32 v[11:12], null, v3, s28, 0
	s_load_dwordx2 s[28:29], s[6:7], 0x0
	s_add_u32 s26, s26, 1
	s_addc_u32 s27, s27, 0
	s_add_u32 s6, s6, 8
	s_addc_u32 s7, s7, 0
	s_add_u32 s22, s22, 8
	v_add3_u32 v8, v12, v13, v8
	v_sub_co_u32 v9, vcc_lo, v9, v11
	s_addc_u32 s23, s23, 0
	s_add_u32 s24, s24, 8
	v_sub_co_ci_u32_e32 v8, vcc_lo, v10, v8, vcc_lo
	s_addc_u32 s25, s25, 0
	s_waitcnt lgkmcnt(0)
	v_mul_lo_u32 v10, s0, v8
	v_mul_lo_u32 v11, s1, v9
	v_mad_u64_u32 v[5:6], null, s0, v9, v[5:6]
	v_mul_lo_u32 v8, s28, v8
	v_mul_lo_u32 v12, s29, v9
	v_mad_u64_u32 v[1:2], null, s28, v9, v[1:2]
	v_cmp_ge_u64_e64 s0, s[26:27], s[10:11]
	v_add3_u32 v6, v11, v6, v10
	v_add3_u32 v2, v12, v2, v8
	s_and_b32 vcc_lo, exec_lo, s0
	s_cbranch_vccnz .LBB0_9
; %bb.7:                                ;   in Loop: Header=BB0_2 Depth=1
	v_mov_b32_e32 v10, v4
	v_mov_b32_e32 v9, v3
	s_branch .LBB0_2
.LBB0_8:
	v_mov_b32_e32 v1, v5
	v_mov_b32_e32 v3, v9
	;; [unrolled: 1-line block ×4, first 2 shown]
.LBB0_9:
	s_load_dwordx2 s[0:1], s[4:5], 0x28
	v_mul_hi_u32 v8, 0x4104105, v0
	s_lshl_b64 s[6:7], s[10:11], 3
                                        ; implicit-def: $vgpr65
                                        ; implicit-def: $vgpr67
                                        ; implicit-def: $vgpr68
                                        ; implicit-def: $vgpr66
                                        ; implicit-def: $vgpr69
                                        ; implicit-def: $vgpr71
                                        ; implicit-def: $vgpr70
                                        ; implicit-def: $vgpr73
                                        ; implicit-def: $vgpr75
	s_add_u32 s4, s18, s6
	s_addc_u32 s5, s19, s7
	s_waitcnt lgkmcnt(0)
	v_cmp_gt_u64_e32 vcc_lo, s[0:1], v[3:4]
	v_cmp_le_u64_e64 s0, s[0:1], v[3:4]
	s_and_saveexec_b32 s1, s0
	s_xor_b32 s0, exec_lo, s1
; %bb.10:
	v_mul_u32_u24_e32 v5, 63, v8
                                        ; implicit-def: $vgpr8
	v_sub_nc_u32_e32 v65, v0, v5
                                        ; implicit-def: $vgpr0
                                        ; implicit-def: $vgpr5_vgpr6
	v_add_nc_u32_e32 v67, 63, v65
	v_add_nc_u32_e32 v68, 0x7e, v65
	v_add_nc_u32_e32 v66, 0xbd, v65
	v_add_nc_u32_e32 v69, 0xfc, v65
	v_add_nc_u32_e32 v71, 0x13b, v65
	v_add_nc_u32_e32 v70, 0x17a, v65
	v_add_nc_u32_e32 v73, 0x1b9, v65
	v_add_nc_u32_e32 v75, 0x1f8, v65
; %bb.11:
	s_or_saveexec_b32 s1, s0
                                        ; implicit-def: $vgpr46
                                        ; implicit-def: $vgpr38
                                        ; implicit-def: $vgpr56
                                        ; implicit-def: $vgpr54
                                        ; implicit-def: $vgpr48
                                        ; implicit-def: $vgpr50
                                        ; implicit-def: $vgpr25
                                        ; implicit-def: $vgpr52
                                        ; implicit-def: $vgpr43
                                        ; implicit-def: $vgpr21
                                        ; implicit-def: $vgpr31
                                        ; implicit-def: $vgpr7
                                        ; implicit-def: $vgpr9
                                        ; implicit-def: $vgpr19
                                        ; implicit-def: $vgpr17
                                        ; implicit-def: $vgpr15
                                        ; implicit-def: $vgpr13
                                        ; implicit-def: $vgpr11
                                        ; implicit-def: $vgpr27
                                        ; implicit-def: $vgpr29
                                        ; implicit-def: $vgpr33
                                        ; implicit-def: $vgpr58
                                        ; implicit-def: $vgpr23
                                        ; implicit-def: $vgpr60
                                        ; implicit-def: $vgpr36
                                        ; implicit-def: $vgpr64
                                        ; implicit-def: $vgpr41
	s_xor_b32 exec_lo, exec_lo, s1
	s_cbranch_execz .LBB0_13
; %bb.12:
	s_add_u32 s6, s16, s6
	s_addc_u32 s7, s17, s7
	v_mul_u32_u24_e32 v7, 63, v8
	s_load_dwordx2 s[6:7], s[6:7], 0x0
	v_lshlrev_b64 v[5:6], 3, v[5:6]
	v_sub_nc_u32_e32 v65, v0, v7
	v_mad_u64_u32 v[7:8], null, s20, v65, 0
	v_add_nc_u32_e32 v18, 0x237, v65
	v_add_nc_u32_e32 v21, 0x46e, v65
	;; [unrolled: 1-line block ×5, first 2 shown]
	v_mad_u64_u32 v[9:10], null, s20, v18, 0
	v_mov_b32_e32 v0, v8
	v_mad_u64_u32 v[11:12], null, s20, v21, 0
	s_waitcnt lgkmcnt(0)
	v_mul_lo_u32 v8, s7, v3
	v_mul_lo_u32 v19, s6, v4
	v_mad_u64_u32 v[13:14], null, s6, v3, 0
	v_mad_u64_u32 v[15:16], null, s21, v65, v[0:1]
	v_mov_b32_e32 v0, v10
	v_mad_u64_u32 v[16:17], null, s20, v67, 0
	v_mov_b32_e32 v10, v12
	v_add3_u32 v14, v14, v19, v8
	v_mad_u64_u32 v[18:19], null, s21, v18, v[0:1]
	v_mov_b32_e32 v8, v15
	v_mad_u64_u32 v[19:20], null, s20, v22, 0
	v_lshlrev_b64 v[12:13], 3, v[13:14]
	v_mad_u64_u32 v[14:15], null, s21, v21, v[10:11]
	v_mov_b32_e32 v0, v17
	v_mov_b32_e32 v10, v18
	v_add_nc_u32_e32 v21, 0x4ad, v65
	v_add_co_u32 v15, s0, s12, v12
	v_add_co_ci_u32_e64 v13, s0, s13, v13, s0
	v_mov_b32_e32 v12, v14
	v_add_co_u32 v49, s0, v15, v5
	v_add_co_ci_u32_e64 v50, s0, v13, v6, s0
	v_lshlrev_b64 v[5:6], 3, v[9:10]
	v_mad_u64_u32 v[9:10], null, s21, v67, v[0:1]
	v_lshlrev_b64 v[7:8], 3, v[7:8]
	v_lshlrev_b64 v[10:11], 3, v[11:12]
	v_mov_b32_e32 v0, v20
	v_mad_u64_u32 v[12:13], null, s20, v21, 0
	v_add_nc_u32_e32 v27, 0x4ec, v65
	v_mov_b32_e32 v17, v9
	v_add_co_u32 v7, s0, v49, v7
	v_mad_u64_u32 v[14:15], null, s21, v22, v[0:1]
	v_add_co_ci_u32_e64 v8, s0, v50, v8, s0
	v_add_co_u32 v5, s0, v49, v5
	v_lshlrev_b64 v[15:16], 3, v[16:17]
	v_mov_b32_e32 v0, v13
	v_add_co_ci_u32_e64 v6, s0, v50, v6, s0
	v_add_co_u32 v9, s0, v49, v10
	v_add_co_ci_u32_e64 v10, s0, v50, v11, s0
	v_mov_b32_e32 v20, v14
	v_mad_u64_u32 v[13:14], null, s21, v21, v[0:1]
	v_add_co_u32 v14, s0, v49, v15
	v_mad_u64_u32 v[17:18], null, s20, v68, 0
	v_add_co_ci_u32_e64 v15, s0, v50, v16, s0
	v_add_nc_u32_e32 v16, 0x2b5, v65
	v_add_nc_u32_e32 v66, 0xbd, v65
	v_lshlrev_b64 v[11:12], 3, v[12:13]
	v_add_nc_u32_e32 v13, 0x2f4, v65
	v_mov_b32_e32 v0, v18
	v_mad_u64_u32 v[21:22], null, s20, v16, 0
	v_add_nc_u32_e32 v69, 0xfc, v65
	v_add_nc_u32_e32 v71, 0x13b, v65
	v_mad_u64_u32 v[23:24], null, s21, v68, v[0:1]
	v_lshlrev_b64 v[19:20], 3, v[19:20]
	v_add_nc_u32_e32 v70, 0x17a, v65
	v_mov_b32_e32 v0, v22
	v_add_nc_u32_e32 v48, 0x3b1, v65
	v_add_nc_u32_e32 v73, 0x1b9, v65
	;; [unrolled: 1-line block ×3, first 2 shown]
	v_mov_b32_e32 v18, v23
	v_mad_u64_u32 v[25:26], null, s21, v16, v[0:1]
	v_mad_u64_u32 v[23:24], null, s20, v27, 0
	v_lshlrev_b64 v[16:17], 3, v[17:18]
	v_add_nc_u32_e32 v18, 0x52b, v65
	v_add_co_u32 v19, s0, v49, v19
	v_mov_b32_e32 v22, v25
	v_mad_u64_u32 v[25:26], null, s20, v66, 0
	v_mov_b32_e32 v0, v24
	v_add_co_ci_u32_e64 v20, s0, v50, v20, s0
	v_add_co_u32 v11, s0, v49, v11
	v_mad_u64_u32 v[27:28], null, s21, v27, v[0:1]
	v_mov_b32_e32 v0, v26
	v_lshlrev_b64 v[21:22], 3, v[21:22]
	v_add_co_ci_u32_e64 v12, s0, v50, v12, s0
	v_add_co_u32 v16, s0, v49, v16
	v_mad_u64_u32 v[29:30], null, s21, v66, v[0:1]
	v_mov_b32_e32 v24, v27
	v_mad_u64_u32 v[27:28], null, s20, v13, 0
	v_add_co_ci_u32_e64 v17, s0, v50, v17, s0
	v_lshlrev_b64 v[23:24], 3, v[23:24]
	v_mov_b32_e32 v26, v29
	v_mad_u64_u32 v[29:30], null, s20, v18, 0
	v_mov_b32_e32 v0, v28
	v_add_co_u32 v21, s0, v49, v21
	v_lshlrev_b64 v[25:26], 3, v[25:26]
	v_add_co_ci_u32_e64 v22, s0, v50, v22, s0
	v_mad_u64_u32 v[31:32], null, s21, v13, v[0:1]
	v_mov_b32_e32 v0, v30
	v_add_nc_u32_e32 v13, 0x333, v65
	v_add_co_u32 v23, s0, v49, v23
	v_add_co_ci_u32_e64 v24, s0, v50, v24, s0
	v_mad_u64_u32 v[33:34], null, s21, v18, v[0:1]
	v_mov_b32_e32 v28, v31
	v_mad_u64_u32 v[31:32], null, s20, v69, 0
	v_add_nc_u32_e32 v18, 0x56a, v65
	v_add_co_u32 v25, s0, v49, v25
	v_mov_b32_e32 v30, v33
	v_mad_u64_u32 v[33:34], null, s20, v13, 0
	v_mov_b32_e32 v0, v32
	v_lshlrev_b64 v[27:28], 3, v[27:28]
	v_lshlrev_b64 v[29:30], 3, v[29:30]
	v_add_co_ci_u32_e64 v26, s0, v50, v26, s0
	v_mad_u64_u32 v[35:36], null, s21, v69, v[0:1]
	v_mov_b32_e32 v0, v34
	v_mad_u64_u32 v[36:37], null, s20, v18, 0
	v_add_co_u32 v27, s0, v49, v27
	v_mad_u64_u32 v[38:39], null, s21, v13, v[0:1]
	v_mov_b32_e32 v32, v35
	v_add_nc_u32_e32 v35, 0x372, v65
	v_mov_b32_e32 v0, v37
	v_add_co_ci_u32_e64 v28, s0, v50, v28, s0
	v_lshlrev_b64 v[31:32], 3, v[31:32]
	v_mov_b32_e32 v34, v38
	v_mad_u64_u32 v[37:38], null, s21, v18, v[0:1]
	v_mad_u64_u32 v[38:39], null, s20, v71, 0
	;; [unrolled: 1-line block ×3, first 2 shown]
	v_add_nc_u32_e32 v18, 0x5a9, v65
	v_add_co_u32 v29, s0, v49, v29
	v_lshlrev_b64 v[33:34], 3, v[33:34]
	v_mov_b32_e32 v0, v39
	v_add_co_ci_u32_e64 v30, s0, v50, v30, s0
	v_mov_b32_e32 v13, v41
	v_mad_u64_u32 v[46:47], null, s20, v48, 0
	v_mad_u64_u32 v[41:42], null, s21, v71, v[0:1]
	;; [unrolled: 1-line block ×4, first 2 shown]
	v_add_co_u32 v31, s0, v49, v31
	v_mov_b32_e32 v39, v41
	v_lshlrev_b64 v[35:36], 3, v[36:37]
	v_mov_b32_e32 v0, v43
	v_add_co_ci_u32_e64 v32, s0, v50, v32, s0
	v_mov_b32_e32 v41, v44
	v_add_co_u32 v33, s0, v49, v33
	v_mad_u64_u32 v[43:44], null, s21, v18, v[0:1]
	v_mad_u64_u32 v[44:45], null, s20, v70, 0
	v_add_co_ci_u32_e64 v34, s0, v50, v34, s0
	v_add_co_u32 v61, s0, v49, v35
	v_mov_b32_e32 v13, v47
	v_add_co_ci_u32_e64 v62, s0, v50, v36, s0
	v_mov_b32_e32 v0, v45
	v_lshlrev_b64 v[35:36], 3, v[38:39]
	v_lshlrev_b64 v[37:38], 3, v[40:41]
	v_add_nc_u32_e32 v18, 0x5e8, v65
	v_add_nc_u32_e32 v51, 0x666, v65
	v_mad_u64_u32 v[39:40], null, s21, v70, v[0:1]
	v_mad_u64_u32 v[40:41], null, s21, v48, v[13:14]
	v_add_co_u32 v76, s0, v49, v35
	v_add_co_ci_u32_e64 v77, s0, v50, v36, s0
	v_add_co_u32 v78, s0, v49, v37
	v_add_co_ci_u32_e64 v79, s0, v50, v38, s0
	v_mad_u64_u32 v[37:38], null, s20, v18, 0
	v_mov_b32_e32 v45, v39
	v_mov_b32_e32 v47, v40
	v_mad_u64_u32 v[39:40], null, s20, v73, 0
	v_lshlrev_b64 v[35:36], 3, v[42:43]
	v_add_nc_u32_e32 v48, 0x3f0, v65
	v_mov_b32_e32 v0, v38
	v_lshlrev_b64 v[41:42], 3, v[46:47]
	v_mov_b32_e32 v13, v40
	v_add_co_u32 v80, s0, v49, v35
	v_add_co_ci_u32_e64 v81, s0, v50, v36, s0
	v_lshlrev_b64 v[35:36], 3, v[44:45]
	v_mad_u64_u32 v[43:44], null, s20, v48, 0
	v_mad_u64_u32 v[45:46], null, s21, v18, v[0:1]
	v_mad_u64_u32 v[46:47], null, s21, v73, v[13:14]
	v_add_nc_u32_e32 v18, 0x627, v65
	v_add_co_u32 v82, s0, v49, v35
	v_mov_b32_e32 v0, v44
	v_mov_b32_e32 v38, v45
	v_add_co_ci_u32_e64 v83, s0, v50, v36, s0
	v_mov_b32_e32 v40, v46
	v_mad_u64_u32 v[45:46], null, s20, v18, 0
	v_mad_u64_u32 v[35:36], null, s21, v48, v[0:1]
	v_add_co_u32 v84, s0, v49, v41
	v_lshlrev_b64 v[36:37], 3, v[37:38]
	v_lshlrev_b64 v[38:39], 3, v[39:40]
	v_mad_u64_u32 v[40:41], null, s20, v75, 0
	v_mov_b32_e32 v0, v46
	v_mov_b32_e32 v44, v35
	v_add_co_ci_u32_e64 v85, s0, v50, v42, s0
	v_add_co_u32 v86, s0, v49, v36
	v_mov_b32_e32 v13, v41
	v_mad_u64_u32 v[41:42], null, s21, v18, v[0:1]
	v_add_nc_u32_e32 v18, 0x42f, v65
	v_lshlrev_b64 v[35:36], 3, v[43:44]
	v_mad_u64_u32 v[42:43], null, s21, v75, v[13:14]
	v_mad_u64_u32 v[47:48], null, s20, v51, 0
	v_mad_u64_u32 v[43:44], null, s20, v18, 0
	v_mov_b32_e32 v46, v41
	v_add_co_ci_u32_e64 v87, s0, v50, v37, s0
	v_add_co_u32 v88, s0, v49, v38
	v_mov_b32_e32 v13, v48
	v_mov_b32_e32 v0, v44
	v_lshlrev_b64 v[37:38], 3, v[45:46]
	v_mov_b32_e32 v41, v42
	v_add_co_ci_u32_e64 v89, s0, v50, v39, s0
	v_mad_u64_u32 v[44:45], null, s21, v18, v[0:1]
	v_mad_u64_u32 v[45:46], null, s21, v51, v[13:14]
	v_add_co_u32 v90, s0, v49, v35
	v_add_co_ci_u32_e64 v91, s0, v50, v36, s0
	v_lshlrev_b64 v[35:36], 3, v[40:41]
	v_add_co_u32 v92, s0, v49, v37
	v_mov_b32_e32 v48, v45
	v_add_co_ci_u32_e64 v93, s0, v50, v38, s0
	v_lshlrev_b64 v[37:38], 3, v[43:44]
	v_add_co_u32 v94, s0, v49, v35
	v_add_co_ci_u32_e64 v95, s0, v50, v36, s0
	v_lshlrev_b64 v[35:36], 3, v[47:48]
	v_add_co_u32 v96, s0, v49, v37
	v_add_co_ci_u32_e64 v97, s0, v50, v38, s0
	v_add_co_u32 v98, s0, v49, v35
	v_add_co_ci_u32_e64 v99, s0, v50, v36, s0
	s_clause 0x1a
	global_load_dwordx2 v[45:46], v[7:8], off
	global_load_dwordx2 v[37:38], v[5:6], off
	;; [unrolled: 1-line block ×27, first 2 shown]
.LBB0_13:
	s_or_b32 exec_lo, exec_lo, s1
	s_waitcnt vmcnt(24)
	v_add_f32_e32 v0, v37, v55
	v_add_f32_e32 v5, v45, v37
	v_sub_f32_e32 v34, v38, v56
	s_waitcnt vmcnt(21)
	v_add_f32_e32 v39, v53, v63
	v_sub_f32_e32 v98, v37, v55
	v_fmac_f32_e32 v45, -0.5, v0
	v_add_f32_e32 v0, v46, v38
	v_add_f32_e32 v38, v38, v56
	;; [unrolled: 1-line block ×3, first 2 shown]
	s_waitcnt vmcnt(16)
	v_add_f32_e32 v55, v24, v59
	v_fmamk_f32 v44, v34, 0xbf5db3d7, v45
	v_add_f32_e32 v97, v0, v56
	v_add_f32_e32 v0, v53, v40
	v_fmac_f32_e32 v45, 0x3f5db3d7, v34
	v_fmac_f32_e32 v40, -0.5, v39
	v_sub_f32_e32 v34, v54, v64
	v_fmac_f32_e32 v46, -0.5, v38
	v_add_f32_e32 v37, v63, v0
	v_add_f32_e32 v0, v47, v49
	;; [unrolled: 1-line block ×3, first 2 shown]
	v_fmamk_f32 v38, v34, 0xbf5db3d7, v40
	v_fmac_f32_e32 v40, 0x3f5db3d7, v34
	s_waitcnt vmcnt(15)
	v_add_f32_e32 v34, v51, v59
	v_fmac_f32_e32 v35, -0.5, v0
	v_sub_f32_e32 v0, v48, v50
	s_waitcnt vmcnt(12)
	v_add_f32_e32 v61, v42, v57
	s_waitcnt vmcnt(9)
	v_add_f32_e32 v72, v30, v32
	v_fmac_f32_e32 v24, -0.5, v34
	v_sub_f32_e32 v34, v60, v52
	v_fmamk_f32 v56, v0, 0xbf5db3d7, v35
	v_fmac_f32_e32 v35, 0x3f5db3d7, v0
	v_add_f32_e32 v0, v57, v22
	v_fmac_f32_e32 v22, -0.5, v61
	v_fmamk_f32 v62, v34, 0xbf5db3d7, v24
	v_sub_f32_e32 v61, v58, v43
	v_fmac_f32_e32 v24, 0x3f5db3d7, v34
	v_add_f32_e32 v34, v42, v0
	v_add_f32_e32 v0, v20, v30
	v_fmac_f32_e32 v20, -0.5, v72
	v_sub_f32_e32 v72, v31, v33
	v_fmamk_f32 v74, v61, 0xbf5db3d7, v22
	v_fmac_f32_e32 v22, 0x3f5db3d7, v61
	v_add_f32_e32 v61, v0, v32
	s_waitcnt vmcnt(6)
	v_add_f32_e32 v0, v26, v28
	v_mad_u32_u24 v99, v65, 12, 0
	v_fmamk_f32 v76, v72, 0xbf5db3d7, v20
	v_fmac_f32_e32 v20, 0x3f5db3d7, v72
	v_add_f32_e32 v72, v6, v28
	v_fmac_f32_e32 v6, -0.5, v0
	ds_write2_b32 v99, v5, v44 offset1:1
	v_mad_i32_i24 v0, v67, 12, 0
	v_sub_f32_e32 v5, v29, v27
	s_waitcnt vmcnt(3)
	v_add_f32_e32 v77, v18, v16
	v_add_f32_e32 v39, v49, v39
	;; [unrolled: 1-line block ×3, first 2 shown]
	v_mad_i32_i24 v72, v68, 12, 0
	s_load_dwordx2 s[4:5], s[4:5], 0x0
	ds_write_b32 v99, v45 offset:8
	ds_write2_b32 v0, v37, v38 offset1:1
	v_fmamk_f32 v37, v5, 0xbf5db3d7, v6
	v_fmac_f32_e32 v6, 0x3f5db3d7, v5
	v_add_f32_e32 v5, v8, v18
	v_fmac_f32_e32 v8, -0.5, v77
	ds_write_b32 v0, v40 offset:8
	ds_write2_b32 v72, v39, v56 offset1:1
	v_sub_f32_e32 v38, v19, v17
	s_waitcnt vmcnt(0)
	v_add_f32_e32 v39, v14, v12
	v_add_f32_e32 v55, v51, v55
	v_mad_i32_i24 v80, v66, 12, 0
	v_mad_i32_i24 v100, v69, 12, 0
	;; [unrolled: 1-line block ×3, first 2 shown]
	ds_write_b32 v72, v35 offset:8
	ds_write2_b32 v80, v55, v62 offset1:1
	v_fmamk_f32 v35, v38, 0xbf5db3d7, v8
	v_add_f32_e32 v40, v14, v10
	v_fmac_f32_e32 v8, 0x3f5db3d7, v38
	v_fmac_f32_e32 v10, -0.5, v39
	v_sub_f32_e32 v38, v15, v13
	v_mad_i32_i24 v102, v70, 12, 0
	ds_write_b32 v80, v24 offset:8
	ds_write2_b32 v100, v34, v74 offset1:1
	ds_write_b32 v100, v22 offset:8
	ds_write_b32 v101, v20 offset:8
	v_mad_i32_i24 v104, v75, 12, 0
	v_lshlrev_b32_e32 v20, 3, v75
	v_add_f32_e32 v5, v5, v16
	v_mad_i32_i24 v103, v73, 12, 0
	v_lshl_add_u32 v74, v65, 2, 0
	v_lshlrev_b32_e32 v81, 3, v67
	v_lshlrev_b32_e32 v82, 3, v68
	v_add_f32_e32 v39, v12, v40
	v_fmamk_f32 v24, v38, 0xbf5db3d7, v10
	v_lshlrev_b32_e32 v83, 3, v66
	v_fmac_f32_e32 v10, 0x3f5db3d7, v38
	ds_write2_b32 v101, v61, v76 offset1:1
	ds_write2_b32 v102, v44, v37 offset1:1
	ds_write_b32 v102, v6 offset:8
	ds_write2_b32 v103, v5, v35 offset1:1
	ds_write_b32 v103, v8 offset:8
	;; [unrolled: 2-line block ×3, first 2 shown]
	v_lshlrev_b32_e32 v5, 3, v69
	v_lshlrev_b32_e32 v6, 3, v71
	;; [unrolled: 1-line block ×4, first 2 shown]
	v_sub_nc_u32_e32 v85, v104, v20
	v_fmamk_f32 v105, v98, 0x3f5db3d7, v46
	v_fmac_f32_e32 v46, 0xbf5db3d7, v98
	v_add_nc_u32_e32 v78, 0x800, v74
	v_sub_nc_u32_e32 v24, v0, v81
	v_add_nc_u32_e32 v77, 0x1000, v74
	v_sub_nc_u32_e32 v84, v72, v82
	v_sub_nc_u32_e32 v90, v80, v83
	;; [unrolled: 1-line block ×3, first 2 shown]
	s_waitcnt lgkmcnt(0)
	s_barrier
	buffer_gl0_inv
	v_sub_nc_u32_e32 v88, v101, v6
	v_sub_nc_u32_e32 v89, v102, v8
	;; [unrolled: 1-line block ×3, first 2 shown]
	v_add_nc_u32_e32 v79, 0x1400, v74
	v_add_nc_u32_e32 v76, 0xc00, v74
	ds_read_b32 v96, v74
	ds_read_b32 v95, v24
	;; [unrolled: 1-line block ×8, first 2 shown]
	v_add_nc_u32_e32 v91, 0x1800, v74
	ds_read_b32 v8, v85
	ds_read2_b32 v[117:118], v78 offset0:55 offset1:118
	ds_read2_b32 v[34:35], v77 offset0:47 offset1:110
	ds_read2_b32 v[119:120], v77 offset0:173 offset1:236
	ds_read2_b32 v[61:62], v78 offset0:181 offset1:244
	ds_read2_b32 v[55:56], v79 offset0:43 offset1:106
	ds_read2_b32 v[44:45], v76 offset0:51 offset1:114
	ds_read2_b32 v[39:40], v79 offset0:169 offset1:232
	ds_read2_b32 v[37:38], v76 offset0:177 offset1:240
	ds_read2_b32 v[5:6], v91 offset0:39 offset1:102
	s_waitcnt lgkmcnt(0)
	s_barrier
	buffer_gl0_inv
	ds_write2_b32 v99, v97, v105 offset1:1
	v_add_f32_e32 v97, v54, v41
	ds_write_b32 v99, v46 offset:8
	v_add_f32_e32 v46, v54, v64
	v_add_f32_e32 v54, v48, v36
	;; [unrolled: 1-line block ×3, first 2 shown]
	v_sub_f32_e32 v53, v53, v63
	v_sub_f32_e32 v47, v47, v49
	v_fmac_f32_e32 v41, -0.5, v46
	v_add_f32_e32 v49, v50, v54
	v_add_f32_e32 v50, v52, v60
	;; [unrolled: 1-line block ×3, first 2 shown]
	v_fmac_f32_e32 v36, -0.5, v48
	v_add_f32_e32 v63, v64, v97
	v_add_f32_e32 v64, v25, v60
	v_sub_f32_e32 v51, v59, v51
	v_fmamk_f32 v48, v53, 0x3f5db3d7, v41
	v_fmac_f32_e32 v25, -0.5, v50
	v_fmac_f32_e32 v41, 0xbf5db3d7, v53
	v_add_f32_e32 v54, v43, v58
	v_add_f32_e32 v43, v43, v46
	v_fmamk_f32 v46, v47, 0x3f5db3d7, v36
	v_fmac_f32_e32 v36, 0xbf5db3d7, v47
	v_add_f32_e32 v52, v52, v64
	ds_write2_b32 v0, v63, v48 offset1:1
	ds_write_b32 v0, v41 offset:8
	v_fmamk_f32 v41, v51, 0x3f5db3d7, v25
	ds_write2_b32 v72, v49, v46 offset1:1
	v_fmac_f32_e32 v25, 0xbf5db3d7, v51
	ds_write_b32 v72, v36 offset:8
	ds_write2_b32 v80, v52, v41 offset1:1
	v_add_f32_e32 v36, v31, v33
	v_sub_f32_e32 v42, v57, v42
	v_fmac_f32_e32 v23, -0.5, v54
	ds_write_b32 v80, v25 offset:8
	v_add_f32_e32 v25, v21, v31
	v_sub_f32_e32 v30, v30, v32
	v_fmac_f32_e32 v21, -0.5, v36
	v_fmamk_f32 v41, v42, 0x3f5db3d7, v23
	v_fmac_f32_e32 v23, 0xbf5db3d7, v42
	v_add_f32_e32 v31, v27, v29
	v_add_f32_e32 v25, v25, v33
	v_fmamk_f32 v32, v30, 0x3f5db3d7, v21
	v_fmac_f32_e32 v21, 0xbf5db3d7, v30
	ds_write2_b32 v100, v43, v41 offset1:1
	v_add_f32_e32 v29, v7, v29
	v_sub_f32_e32 v26, v28, v26
	v_fmac_f32_e32 v7, -0.5, v31
	ds_write_b32 v100, v23 offset:8
	ds_write2_b32 v101, v25, v32 offset1:1
	ds_write_b32 v101, v21 offset:8
	v_and_b32_e32 v28, 0xff, v65
	v_add_f32_e32 v25, v9, v19
	v_add_f32_e32 v19, v19, v17
	v_sub_f32_e32 v16, v18, v16
	v_add_f32_e32 v18, v15, v13
	v_fmamk_f32 v23, v26, 0x3f5db3d7, v7
	v_fmac_f32_e32 v7, 0xbf5db3d7, v26
	v_mul_lo_u16 v26, 0xab, v28
	v_fmac_f32_e32 v9, -0.5, v19
	v_add_f32_e32 v19, v15, v11
	v_fmac_f32_e32 v11, -0.5, v18
	v_sub_f32_e32 v12, v14, v12
	v_add_f32_e32 v21, v27, v29
	v_add_f32_e32 v17, v25, v17
	v_lshrrev_b16 v15, 9, v26
	v_and_b32_e32 v26, 0xff, v68
	v_fmamk_f32 v25, v12, 0x3f5db3d7, v11
	v_fmac_f32_e32 v11, 0xbf5db3d7, v12
	v_fmamk_f32 v14, v16, 0x3f5db3d7, v9
	v_fmac_f32_e32 v9, 0xbf5db3d7, v16
	v_add_f32_e32 v19, v13, v19
	ds_write2_b32 v102, v21, v23 offset1:1
	ds_write_b32 v102, v7 offset:8
	ds_write2_b32 v103, v17, v14 offset1:1
	ds_write_b32 v103, v9 offset:8
	;; [unrolled: 2-line block ×3, first 2 shown]
	v_mul_lo_u16 v11, 0xab, v26
	v_and_b32_e32 v29, 0xff, v67
	v_mul_lo_u16 v16, v15, 3
	v_mov_b32_e32 v23, 4
	s_waitcnt lgkmcnt(0)
	v_lshrrev_b16 v14, 9, v11
	v_mul_lo_u16 v18, 0xab, v29
	v_sub_nc_u16 v13, v65, v16
	s_barrier
	buffer_gl0_inv
	v_mul_lo_u16 v11, v14, 3
	v_lshrrev_b16 v12, 9, v18
	v_lshlrev_b32_sdwa v7, v23, v13 dst_sel:DWORD dst_unused:UNUSED_PAD src0_sel:DWORD src1_sel:BYTE_0
	v_and_b32_e32 v27, 0xff, v66
	v_mov_b32_e32 v17, 0xaaab
	v_sub_nc_u16 v16, v68, v11
	v_cmp_gt_u32_e64 s0, 18, v65
	global_load_dwordx4 v[30:33], v7, s[8:9]
	v_sub_nc_u32_e32 v81, 0, v81
	v_mul_u32_u24_sdwa v19, v69, v17 dst_sel:DWORD dst_unused:UNUSED_PAD src0_sel:WORD_0 src1_sel:DWORD
	v_lshlrev_b32_sdwa v18, v23, v16 dst_sel:DWORD dst_unused:UNUSED_PAD src0_sel:DWORD src1_sel:BYTE_0
	v_sub_nc_u32_e32 v82, 0, v82
	global_load_dwordx4 v[50:53], v18, s[8:9]
	v_mul_lo_u16 v7, v12, 3
	v_sub_nc_u16 v7, v67, v7
	v_lshlrev_b32_sdwa v9, v23, v7 dst_sel:DWORD dst_unused:UNUSED_PAD src0_sel:DWORD src1_sel:BYTE_0
	global_load_dwordx4 v[46:49], v9, s[8:9]
	v_mul_lo_u16 v9, 0xab, v27
	v_lshrrev_b16 v9, 9, v9
	v_mul_lo_u16 v11, v9, 3
	v_sub_nc_u16 v21, v66, v11
	v_lshrrev_b32_e32 v11, 17, v19
	v_mul_u32_u24_sdwa v19, v71, v17 dst_sel:DWORD dst_unused:UNUSED_PAD src0_sel:WORD_0 src1_sel:DWORD
	v_lshlrev_b32_sdwa v18, v23, v21 dst_sel:DWORD dst_unused:UNUSED_PAD src0_sel:DWORD src1_sel:BYTE_0
	v_mul_lo_u16 v25, v11, 3
	v_lshrrev_b32_e32 v19, 17, v19
	global_load_dwordx4 v[57:60], v18, s[8:9]
	v_sub_nc_u16 v54, v69, v25
	v_mul_lo_u16 v25, v19, 3
	v_lshlrev_b32_sdwa v36, v23, v54 dst_sel:DWORD dst_unused:UNUSED_PAD src0_sel:DWORD src1_sel:WORD_0
	v_sub_nc_u16 v64, v71, v25
	global_load_dwordx4 v[97:100], v36, s[8:9]
	v_mul_u32_u24_sdwa v18, v70, v17 dst_sel:DWORD dst_unused:UNUSED_PAD src0_sel:WORD_0 src1_sel:DWORD
	v_lshrrev_b32_e32 v63, 17, v18
	v_mul_u32_u24_sdwa v18, v73, v17 dst_sel:DWORD dst_unused:UNUSED_PAD src0_sel:WORD_0 src1_sel:DWORD
	v_mul_u32_u24_sdwa v17, v75, v17 dst_sel:DWORD dst_unused:UNUSED_PAD src0_sel:WORD_0 src1_sel:DWORD
	v_mul_lo_u16 v25, v63, 3
	v_lshrrev_b32_e32 v121, 17, v18
	v_lshlrev_b32_sdwa v18, v23, v64 dst_sel:DWORD dst_unused:UNUSED_PAD src0_sel:DWORD src1_sel:WORD_0
	v_lshrrev_b32_e32 v123, 17, v17
	v_sub_nc_u16 v122, v70, v25
	v_mul_lo_u16 v36, v121, 3
	global_load_dwordx4 v[101:104], v18, s[8:9]
	v_lshlrev_b32_sdwa v17, v23, v122 dst_sel:DWORD dst_unused:UNUSED_PAD src0_sel:DWORD src1_sel:WORD_0
	v_sub_nc_u16 v124, v73, v36
	global_load_dwordx4 v[105:108], v17, s[8:9]
	v_mul_lo_u16 v18, v123, 3
	v_lshlrev_b32_sdwa v25, v23, v124 dst_sel:DWORD dst_unused:UNUSED_PAD src0_sel:DWORD src1_sel:WORD_0
	v_sub_nc_u16 v125, v75, v18
	global_load_dwordx4 v[109:112], v25, s[8:9]
	v_lshlrev_b32_sdwa v17, v23, v125 dst_sel:DWORD dst_unused:UNUSED_PAD src0_sel:DWORD src1_sel:WORD_0
	global_load_dwordx4 v[113:116], v17, s[8:9]
	ds_read2_b32 v[17:18], v78 offset0:55 offset1:118
	ds_read2_b32 v[41:42], v77 offset0:47 offset1:110
	s_waitcnt vmcnt(8) lgkmcnt(1)
	v_mul_f32_e32 v126, v17, v31
	v_mul_f32_e32 v25, v117, v31
	;; [unrolled: 1-line block ×3, first 2 shown]
	s_waitcnt lgkmcnt(0)
	v_mul_f32_e32 v127, v42, v33
	v_fmac_f32_e32 v126, v117, v30
	v_fma_f32 v117, v17, v30, -v25
	v_fma_f32 v128, v42, v32, -v31
	ds_read2_b32 v[30:31], v77 offset0:173 offset1:236
	v_fmac_f32_e32 v127, v35, v32
	ds_read2_b32 v[32:33], v78 offset0:181 offset1:244
	s_waitcnt vmcnt(7)
	v_mul_f32_e32 v25, v120, v53
	v_mul_f32_e32 v35, v61, v51
	ds_read2_b32 v[42:43], v76 offset0:177 offset1:240
	s_waitcnt vmcnt(6)
	v_mul_f32_e32 v129, v18, v47
	v_mul_f32_e32 v17, v118, v47
	s_waitcnt lgkmcnt(2)
	v_mul_f32_e32 v47, v30, v49
	v_fmac_f32_e32 v129, v118, v46
	v_fma_f32 v46, v18, v46, -v17
	v_mul_f32_e32 v17, v119, v49
	v_mul_f32_e32 v49, v31, v53
	v_fmac_f32_e32 v47, v119, v48
	s_waitcnt lgkmcnt(1)
	v_mul_f32_e32 v53, v32, v51
	v_fma_f32 v51, v31, v52, -v25
	v_fma_f32 v48, v30, v48, -v17
	ds_read2_b32 v[17:18], v79 offset0:43 offset1:106
	v_fmac_f32_e32 v49, v120, v52
	ds_read2_b32 v[30:31], v76 offset0:51 offset1:114
	v_fmac_f32_e32 v53, v61, v50
	v_fma_f32 v50, v32, v50, -v35
	ds_read2_b32 v[35:36], v79 offset0:169 offset1:232
	s_waitcnt vmcnt(5)
	v_mul_f32_e32 v52, v33, v58
	v_mul_f32_e32 v25, v62, v58
	v_fmac_f32_e32 v52, v62, v57
	v_fma_f32 v57, v33, v57, -v25
	ds_read2_b32 v[32:33], v91 offset0:39 offset1:102
	s_waitcnt lgkmcnt(3)
	v_mul_f32_e32 v58, v17, v60
	v_mul_f32_e32 v25, v55, v60
	s_waitcnt vmcnt(4)
	v_mul_f32_e32 v60, v18, v100
	v_fmac_f32_e32 v58, v55, v59
	v_fma_f32 v55, v17, v59, -v25
	v_mul_f32_e32 v17, v56, v100
	s_waitcnt lgkmcnt(2)
	v_mul_f32_e32 v59, v30, v98
	v_mul_f32_e32 v25, v44, v98
	v_fmac_f32_e32 v60, v56, v99
	v_fma_f32 v61, v18, v99, -v17
	v_fmac_f32_e32 v59, v44, v97
	v_fma_f32 v44, v30, v97, -v25
	s_waitcnt vmcnt(3)
	v_mul_f32_e32 v17, v45, v102
	v_mul_f32_e32 v18, v39, v104
	s_waitcnt lgkmcnt(1)
	v_mul_f32_e32 v62, v35, v104
	v_mul_f32_e32 v56, v31, v102
	v_fma_f32 v118, v31, v101, -v17
	v_fma_f32 v35, v35, v103, -v18
	v_fmac_f32_e32 v62, v39, v103
	s_waitcnt vmcnt(2)
	v_mul_f32_e32 v25, v40, v108
	v_mul_f32_e32 v97, v36, v108
	;; [unrolled: 1-line block ×3, first 2 shown]
	v_fmac_f32_e32 v56, v45, v101
	v_mul_f32_e32 v45, v37, v106
	v_fma_f32 v36, v36, v107, -v25
	v_mov_b32_e32 v25, 2
	s_waitcnt vmcnt(1)
	v_mul_f32_e32 v99, v43, v110
	v_mul_f32_e32 v17, v38, v110
	s_waitcnt lgkmcnt(0)
	v_mul_f32_e32 v110, v32, v112
	v_mul_f32_e32 v18, v5, v112
	v_lshlrev_b32_sdwa v13, v25, v13 dst_sel:DWORD dst_unused:UNUSED_PAD src0_sel:DWORD src1_sel:BYTE_0
	v_fmac_f32_e32 v97, v40, v107
	v_lshlrev_b32_sdwa v7, v25, v7 dst_sel:DWORD dst_unused:UNUSED_PAD src0_sel:DWORD src1_sel:BYTE_0
	v_fmac_f32_e32 v110, v5, v111
	v_mov_b32_e32 v5, 36
	s_waitcnt vmcnt(0)
	v_mul_f32_e32 v39, v34, v114
	v_fma_f32 v31, v32, v111, -v18
	v_add_f32_e32 v18, v126, v127
	v_mul_f32_e32 v30, v41, v114
	v_mul_u32_u24_sdwa v15, v15, v5 dst_sel:DWORD dst_unused:UNUSED_PAD src0_sel:WORD_0 src1_sel:DWORD
	v_fma_f32 v32, v41, v113, -v39
	v_add_f32_e32 v39, v96, v126
	v_fmac_f32_e32 v96, -0.5, v18
	v_fmac_f32_e32 v30, v34, v113
	v_add3_u32 v40, 0, v15, v13
	v_sub_f32_e32 v13, v117, v128
	v_mul_f32_e32 v34, v33, v116
	v_mul_u32_u24_sdwa v12, v12, v5 dst_sel:DWORD dst_unused:UNUSED_PAD src0_sel:WORD_0 src1_sel:DWORD
	v_fmac_f32_e32 v99, v38, v109
	v_fma_f32 v38, v43, v109, -v17
	v_fmamk_f32 v15, v13, 0xbf5db3d7, v96
	v_fmac_f32_e32 v96, 0x3f5db3d7, v13
	v_mul_f32_e32 v17, v6, v116
	v_add_f32_e32 v13, v129, v47
	v_fmac_f32_e32 v98, v37, v105
	v_fma_f32 v37, v42, v105, -v45
	v_fmac_f32_e32 v34, v6, v115
	v_add_f32_e32 v6, v39, v127
	ds_read_b32 v39, v74
	ds_read_b32 v41, v24
	;; [unrolled: 1-line block ×9, first 2 shown]
	s_waitcnt lgkmcnt(0)
	s_barrier
	buffer_gl0_inv
	ds_write_b32 v40, v96 offset:24
	v_add3_u32 v96, 0, v12, v7
	v_add_f32_e32 v12, v53, v49
	v_fma_f32 v33, v33, v115, -v17
	v_add_f32_e32 v17, v95, v129
	v_fmac_f32_e32 v95, -0.5, v13
	v_mul_u32_u24_sdwa v13, v14, v5 dst_sel:DWORD dst_unused:UNUSED_PAD src0_sel:WORD_0 src1_sel:DWORD
	v_lshlrev_b32_sdwa v14, v25, v16 dst_sel:DWORD dst_unused:UNUSED_PAD src0_sel:DWORD src1_sel:BYTE_0
	ds_write2_b32 v40, v6, v15 offset1:3
	v_add_f32_e32 v15, v94, v53
	v_fmac_f32_e32 v94, -0.5, v12
	v_add_f32_e32 v12, v52, v58
	v_sub_f32_e32 v7, v46, v48
	v_add3_u32 v115, 0, v13, v14
	v_sub_f32_e32 v13, v50, v51
	v_add_f32_e32 v14, v93, v52
	v_mul_u32_u24_sdwa v5, v9, v5 dst_sel:DWORD dst_unused:UNUSED_PAD src0_sel:WORD_0 src1_sel:DWORD
	v_lshlrev_b32_sdwa v9, v25, v21 dst_sel:DWORD dst_unused:UNUSED_PAD src0_sel:DWORD src1_sel:BYTE_0
	v_fmac_f32_e32 v93, -0.5, v12
	v_sub_f32_e32 v12, v57, v55
	v_add_f32_e32 v6, v17, v47
	v_fmamk_f32 v16, v7, 0xbf5db3d7, v95
	v_fmac_f32_e32 v95, 0x3f5db3d7, v7
	v_add_f32_e32 v7, v15, v49
	v_fmamk_f32 v15, v13, 0xbf5db3d7, v94
	v_fmac_f32_e32 v94, 0x3f5db3d7, v13
	v_add3_u32 v116, 0, v5, v9
	v_add_f32_e32 v5, v14, v58
	v_fmamk_f32 v9, v12, 0xbf5db3d7, v93
	ds_write2_b32 v96, v6, v16 offset1:3
	ds_write_b32 v96, v95 offset:24
	ds_write2_b32 v115, v7, v15 offset1:3
	ds_write_b32 v115, v94 offset:24
	ds_write2_b32 v116, v5, v9 offset1:3
	v_add_f32_e32 v5, v59, v60
	v_mul_u32_u24_e32 v6, 36, v11
	v_lshlrev_b32_sdwa v7, v25, v54 dst_sel:DWORD dst_unused:UNUSED_PAD src0_sel:DWORD src1_sel:WORD_0
	v_add_f32_e32 v9, v92, v59
	v_fmac_f32_e32 v93, 0x3f5db3d7, v12
	v_fmac_f32_e32 v92, -0.5, v5
	v_sub_f32_e32 v5, v44, v61
	v_add3_u32 v54, 0, v6, v7
	v_add_f32_e32 v6, v56, v62
	v_mul_u32_u24_e32 v11, 36, v19
	v_lshlrev_b32_sdwa v12, v25, v64 dst_sel:DWORD dst_unused:UNUSED_PAD src0_sel:DWORD src1_sel:WORD_0
	v_fmamk_f32 v13, v5, 0xbf5db3d7, v92
	v_fmac_f32_e32 v92, 0x3f5db3d7, v5
	v_add_f32_e32 v5, v98, v97
	v_add_f32_e32 v7, v9, v60
	;; [unrolled: 1-line block ×3, first 2 shown]
	v_fmac_f32_e32 v22, -0.5, v6
	v_sub_f32_e32 v6, v118, v35
	v_add3_u32 v64, 0, v11, v12
	v_add_f32_e32 v12, v20, v98
	v_mul_u32_u24_e32 v14, 36, v63
	v_lshlrev_b32_sdwa v15, v25, v122 dst_sel:DWORD dst_unused:UNUSED_PAD src0_sel:DWORD src1_sel:WORD_0
	v_fmac_f32_e32 v20, -0.5, v5
	v_sub_f32_e32 v5, v37, v36
	v_fmamk_f32 v11, v6, 0xbf5db3d7, v22
	v_fmac_f32_e32 v22, 0x3f5db3d7, v6
	v_add_f32_e32 v6, v9, v62
	v_add3_u32 v63, 0, v14, v15
	v_add_f32_e32 v9, v12, v97
	v_fmamk_f32 v12, v5, 0xbf5db3d7, v20
	ds_write_b32 v116, v93 offset:24
	ds_write2_b32 v54, v7, v13 offset1:3
	ds_write_b32 v54, v92 offset:24
	ds_write2_b32 v64, v6, v11 offset1:3
	ds_write_b32 v64, v22 offset:24
	ds_write2_b32 v63, v9, v12 offset1:3
	v_add_f32_e32 v6, v99, v110
	v_fmac_f32_e32 v20, 0x3f5db3d7, v5
	v_mul_u32_u24_e32 v5, 36, v121
	v_lshlrev_b32_sdwa v7, v25, v124 dst_sel:DWORD dst_unused:UNUSED_PAD src0_sel:DWORD src1_sel:WORD_0
	v_add_f32_e32 v9, v10, v99
	v_fmac_f32_e32 v10, -0.5, v6
	v_sub_f32_e32 v6, v38, v31
	v_add_f32_e32 v11, v8, v30
	v_add3_u32 v92, 0, v5, v7
	v_add_f32_e32 v5, v9, v110
	ds_write_b32 v63, v20 offset:24
	v_fmamk_f32 v9, v6, 0xbf5db3d7, v10
	v_add_f32_e32 v7, v30, v34
	v_mul_u32_u24_e32 v12, 36, v123
	v_lshlrev_b32_sdwa v13, v25, v125 dst_sel:DWORD dst_unused:UNUSED_PAD src0_sel:DWORD src1_sel:WORD_0
	v_sub_f32_e32 v94, v126, v127
	ds_write2_b32 v92, v5, v9 offset1:3
	v_add_f32_e32 v5, v11, v34
	v_add_f32_e32 v11, v117, v128
	v_fmac_f32_e32 v8, -0.5, v7
	v_sub_f32_e32 v7, v32, v33
	v_add_f32_e32 v9, v39, v117
	v_add_f32_e32 v95, v46, v48
	v_fmac_f32_e32 v39, -0.5, v11
	v_fmac_f32_e32 v10, 0x3f5db3d7, v6
	v_add3_u32 v93, 0, v12, v13
	v_fmamk_f32 v6, v7, 0xbf5db3d7, v8
	v_fmac_f32_e32 v8, 0x3f5db3d7, v7
	v_add_f32_e32 v22, v9, v128
	v_add_f32_e32 v46, v41, v46
	v_fmac_f32_e32 v41, -0.5, v95
	v_sub_f32_e32 v47, v129, v47
	v_fmamk_f32 v95, v94, 0x3f5db3d7, v39
	v_fmac_f32_e32 v39, 0xbf5db3d7, v94
	ds_write_b32 v92, v10 offset:24
	ds_write2_b32 v93, v5, v6 offset1:3
	ds_write_b32 v93, v8 offset:24
	s_waitcnt lgkmcnt(0)
	s_barrier
	buffer_gl0_inv
	ds_read_b32 v21, v74
	ds_read_b32 v19, v24
	;; [unrolled: 1-line block ×9, first 2 shown]
	ds_read2_b32 v[100:101], v78 offset0:55 offset1:118
	ds_read2_b32 v[7:8], v77 offset0:47 offset1:110
	;; [unrolled: 1-line block ×9, first 2 shown]
	s_waitcnt lgkmcnt(0)
	s_barrier
	buffer_gl0_inv
	v_add_f32_e32 v46, v46, v48
	v_fmamk_f32 v48, v47, 0x3f5db3d7, v41
	ds_write2_b32 v40, v22, v95 offset1:3
	ds_write_b32 v40, v39 offset:24
	v_add_f32_e32 v22, v50, v51
	v_add_f32_e32 v39, v57, v55
	v_fmac_f32_e32 v41, 0xbf5db3d7, v47
	ds_write2_b32 v96, v46, v48 offset1:3
	ds_write_b32 v96, v41 offset:24
	v_add_f32_e32 v40, v42, v50
	v_fmac_f32_e32 v42, -0.5, v22
	v_sub_f32_e32 v22, v53, v49
	v_add_f32_e32 v41, v43, v57
	v_fmac_f32_e32 v43, -0.5, v39
	v_sub_f32_e32 v39, v52, v58
	v_add_f32_e32 v40, v40, v51
	v_fmamk_f32 v46, v22, 0x3f5db3d7, v42
	v_fmac_f32_e32 v42, 0xbf5db3d7, v22
	v_add_f32_e32 v22, v41, v55
	v_fmamk_f32 v41, v39, 0x3f5db3d7, v43
	v_fmac_f32_e32 v43, 0xbf5db3d7, v39
	ds_write2_b32 v115, v40, v46 offset1:3
	ds_write_b32 v115, v42 offset:24
	v_add_f32_e32 v39, v44, v61
	ds_write2_b32 v116, v22, v41 offset1:3
	ds_write_b32 v116, v43 offset:24
	v_add_f32_e32 v22, v118, v35
	v_add_f32_e32 v40, v45, v44
	v_fmac_f32_e32 v45, -0.5, v39
	v_sub_f32_e32 v39, v59, v60
	v_add_f32_e32 v41, v111, v118
	v_fmac_f32_e32 v111, -0.5, v22
	v_sub_f32_e32 v22, v56, v62
	v_add_f32_e32 v40, v40, v61
	v_fmamk_f32 v42, v39, 0x3f5db3d7, v45
	v_fmac_f32_e32 v45, 0xbf5db3d7, v39
	v_add_f32_e32 v35, v41, v35
	v_fmamk_f32 v39, v22, 0x3f5db3d7, v111
	v_fmac_f32_e32 v111, 0xbf5db3d7, v22
	v_add_f32_e32 v22, v37, v36
	v_add_f32_e32 v37, v112, v37
	ds_write2_b32 v54, v40, v42 offset1:3
	ds_write_b32 v54, v45 offset:24
	ds_write2_b32 v64, v35, v39 offset1:3
	ds_write_b32 v64, v111 offset:24
	v_mul_lo_u16 v39, v28, 57
	v_fmac_f32_e32 v112, -0.5, v22
	v_sub_f32_e32 v22, v98, v97
	v_add_f32_e32 v36, v37, v36
	v_add_f32_e32 v35, v38, v31
	;; [unrolled: 1-line block ×3, first 2 shown]
	v_sub_f32_e32 v34, v30, v34
	v_fmamk_f32 v37, v22, 0x3f5db3d7, v112
	v_fmac_f32_e32 v112, 0xbf5db3d7, v22
	v_add_f32_e32 v22, v32, v33
	v_add_f32_e32 v32, v114, v32
	v_fmac_f32_e32 v113, -0.5, v35
	v_sub_f32_e32 v35, v99, v110
	v_mul_lo_u16 v30, v29, 57
	v_fmac_f32_e32 v114, -0.5, v22
	v_lshrrev_b16 v22, 9, v39
	v_add_f32_e32 v32, v32, v33
	v_add_f32_e32 v31, v38, v31
	v_fmamk_f32 v38, v35, 0x3f5db3d7, v113
	v_fmac_f32_e32 v113, 0xbf5db3d7, v35
	v_mul_lo_u16 v33, v22, 9
	v_fmamk_f32 v35, v34, 0x3f5db3d7, v114
	v_lshrrev_b16 v30, 9, v30
	v_fmac_f32_e32 v114, 0xbf5db3d7, v34
	ds_write2_b32 v63, v36, v37 offset1:3
	v_sub_nc_u16 v33, v65, v33
	ds_write_b32 v63, v112 offset:24
	ds_write2_b32 v92, v31, v38 offset1:3
	ds_write_b32 v92, v113 offset:24
	ds_write2_b32 v93, v32, v35 offset1:3
	v_mul_lo_u16 v34, v26, 57
	ds_write_b32 v93, v114 offset:24
	s_waitcnt lgkmcnt(0)
	v_lshlrev_b32_sdwa v31, v23, v33 dst_sel:DWORD dst_unused:UNUSED_PAD src0_sel:DWORD src1_sel:BYTE_0
	s_barrier
	buffer_gl0_inv
	v_mov_b32_e32 v61, 0xe38f
	v_mul_lo_u16 v35, v27, 57
	global_load_dwordx4 v[37:40], v31, s[8:9] offset:48
	v_mul_lo_u16 v31, v30, 9
	v_mul_lo_u16 v28, v28, 19
	v_mul_u32_u24_sdwa v54, v70, v61 dst_sel:DWORD dst_unused:UNUSED_PAD src0_sel:WORD_0 src1_sel:DWORD
	v_mul_u32_u24_sdwa v57, v73, v61 dst_sel:DWORD dst_unused:UNUSED_PAD src0_sel:WORD_0 src1_sel:DWORD
	;; [unrolled: 1-line block ×3, first 2 shown]
	v_sub_nc_u16 v31, v67, v31
	v_mul_lo_u16 v29, v29, 19
	v_lshrrev_b32_e32 v118, 19, v54
	v_lshrrev_b32_e32 v119, 19, v57
	v_lshrrev_b16 v28, 9, v28
	v_lshlrev_b32_sdwa v32, v23, v31 dst_sel:DWORD dst_unused:UNUSED_PAD src0_sel:DWORD src1_sel:BYTE_0
	v_lshrrev_b16 v29, 9, v29
	v_mul_lo_u16 v62, v118, 9
	global_load_dwordx4 v[41:44], v32, s[8:9] offset:48
	v_lshrrev_b16 v32, 9, v34
	v_sub_nc_u16 v120, v70, v62
	v_mul_lo_u16 v62, v119, 9
	v_mul_lo_u16 v34, v32, 9
	v_sub_nc_u16 v122, v73, v62
	v_sub_nc_u16 v36, v68, v34
	v_lshrrev_b16 v34, 9, v35
	v_lshlrev_b32_sdwa v93, v23, v122 dst_sel:DWORD dst_unused:UNUSED_PAD src0_sel:DWORD src1_sel:WORD_0
	v_lshlrev_b32_sdwa v35, v23, v36 dst_sel:DWORD dst_unused:UNUSED_PAD src0_sel:DWORD src1_sel:BYTE_0
	v_mul_lo_u16 v49, v34, 9
	global_load_dwordx4 v[45:48], v35, s[8:9] offset:48
	v_sub_nc_u16 v114, v66, v49
	v_mul_u32_u24_sdwa v49, v71, v61 dst_sel:DWORD dst_unused:UNUSED_PAD src0_sel:WORD_0 src1_sel:DWORD
	v_mul_u32_u24_sdwa v61, v75, v61 dst_sel:DWORD dst_unused:UNUSED_PAD src0_sel:WORD_0 src1_sel:DWORD
	v_lshrrev_b32_e32 v115, 19, v49
	v_lshrrev_b32_e32 v121, 19, v61
	v_lshlrev_b32_sdwa v61, v23, v120 dst_sel:DWORD dst_unused:UNUSED_PAD src0_sel:DWORD src1_sel:WORD_0
	v_mul_lo_u16 v92, v121, 9
	global_load_dwordx4 v[61:64], v61, s[8:9] offset:48
	v_lshrrev_b32_e32 v35, 19, v50
	v_lshlrev_b32_sdwa v50, v23, v114 dst_sel:DWORD dst_unused:UNUSED_PAD src0_sel:DWORD src1_sel:BYTE_0
	v_sub_nc_u16 v123, v75, v92
	global_load_dwordx4 v[92:95], v93, s[8:9] offset:48
	v_mul_lo_u16 v53, v35, 9
	global_load_dwordx4 v[49:52], v50, s[8:9] offset:48
	v_lshlrev_b32_sdwa v96, v23, v123 dst_sel:DWORD dst_unused:UNUSED_PAD src0_sel:DWORD src1_sel:WORD_0
	v_sub_nc_u16 v116, v69, v53
	v_mul_lo_u16 v53, v115, 9
	global_load_dwordx4 v[96:99], v96, s[8:9] offset:48
	v_lshlrev_b32_sdwa v55, v23, v116 dst_sel:DWORD dst_unused:UNUSED_PAD src0_sel:DWORD src1_sel:WORD_0
	v_sub_nc_u16 v117, v71, v53
	global_load_dwordx4 v[53:56], v55, s[8:9] offset:48
	v_lshlrev_b32_sdwa v58, v23, v117 dst_sel:DWORD dst_unused:UNUSED_PAD src0_sel:DWORD src1_sel:WORD_0
	global_load_dwordx4 v[57:60], v58, s[8:9] offset:48
	ds_read2_b32 v[110:111], v78 offset0:55 offset1:118
	ds_read2_b32 v[112:113], v77 offset0:47 offset1:110
	s_waitcnt vmcnt(8) lgkmcnt(1)
	v_mul_f32_e32 v124, v110, v38
	v_mul_f32_e32 v38, v100, v38
	s_waitcnt lgkmcnt(0)
	v_mul_f32_e32 v125, v113, v40
	v_mul_f32_e32 v40, v8, v40
	v_fmac_f32_e32 v124, v100, v37
	v_fma_f32 v100, v110, v37, -v38
	ds_read2_b32 v[37:38], v77 offset0:173 offset1:236
	v_fmac_f32_e32 v125, v8, v39
	v_fma_f32 v8, v113, v39, -v40
	ds_read2_b32 v[39:40], v78 offset0:181 offset1:244
	s_waitcnt vmcnt(7)
	v_mul_f32_e32 v110, v111, v42
	v_mul_f32_e32 v42, v101, v42
	v_fmac_f32_e32 v110, v101, v41
	v_fma_f32 v101, v111, v41, -v42
	v_mul_f32_e32 v41, v102, v44
	s_waitcnt lgkmcnt(1)
	v_mul_f32_e32 v111, v37, v44
	v_fmac_f32_e32 v111, v102, v43
	v_fma_f32 v102, v37, v43, -v41
	ds_read2_b32 v[41:42], v79 offset0:43 offset1:106
	s_waitcnt vmcnt(6)
	v_mul_f32_e32 v113, v38, v48
	v_mul_f32_e32 v37, v103, v48
	;; [unrolled: 1-line block ×3, first 2 shown]
	v_fmac_f32_e32 v113, v103, v47
	s_waitcnt lgkmcnt(1)
	v_mul_f32_e32 v103, v39, v46
	v_fma_f32 v126, v38, v47, -v37
	ds_read2_b32 v[37:38], v76 offset0:51 offset1:114
	ds_read2_b32 v[47:48], v91 offset0:39 offset1:102
	v_fmac_f32_e32 v103, v104, v45
	v_fma_f32 v104, v39, v45, -v43
	ds_read2_b32 v[43:44], v79 offset0:169 offset1:232
	s_waitcnt vmcnt(3)
	v_mul_f32_e32 v127, v40, v50
	v_mul_f32_e32 v39, v105, v50
	s_waitcnt lgkmcnt(3)
	v_mul_f32_e32 v50, v41, v52
	v_mul_f32_e32 v45, v106, v52
	v_fmac_f32_e32 v127, v105, v49
	v_fma_f32 v49, v40, v49, -v39
	v_fmac_f32_e32 v50, v106, v51
	v_fma_f32 v51, v41, v51, -v45
	ds_read2_b32 v[45:46], v76 offset0:177 offset1:240
	s_waitcnt lgkmcnt(2)
	v_mul_f32_e32 v41, v47, v95
	s_waitcnt vmcnt(1)
	v_mul_f32_e32 v52, v42, v56
	v_mul_f32_e32 v39, v107, v56
	;; [unrolled: 1-line block ×4, first 2 shown]
	v_fmac_f32_e32 v41, v5, v94
	v_fmac_f32_e32 v52, v107, v55
	v_fma_f32 v42, v42, v55, -v39
	v_fmac_f32_e32 v56, v108, v53
	v_fma_f32 v53, v37, v53, -v40
	s_waitcnt vmcnt(0) lgkmcnt(1)
	v_mul_f32_e32 v55, v43, v60
	v_mul_f32_e32 v37, v11, v60
	v_mul_f32_e32 v54, v38, v58
	v_mul_f32_e32 v39, v109, v58
	v_mul_f32_e32 v40, v112, v97
	v_fmac_f32_e32 v55, v11, v59
	v_fma_f32 v43, v43, v59, -v37
	s_waitcnt lgkmcnt(0)
	v_mul_f32_e32 v59, v45, v62
	v_mul_f32_e32 v37, v9, v62
	v_fmac_f32_e32 v54, v109, v57
	v_fma_f32 v57, v38, v57, -v39
	v_mul_f32_e32 v39, v46, v93
	v_fmac_f32_e32 v59, v9, v61
	v_mul_f32_e32 v9, v10, v93
	v_mul_f32_e32 v58, v44, v64
	v_mul_f32_e32 v11, v12, v64
	v_fmac_f32_e32 v39, v10, v92
	v_mul_f32_e32 v10, v5, v95
	v_fma_f32 v46, v46, v92, -v9
	v_mul_f32_e32 v9, v7, v97
	v_fmac_f32_e32 v40, v7, v96
	v_mov_b32_e32 v5, 0x6c
	v_mul_f32_e32 v7, v6, v99
	v_fmac_f32_e32 v58, v12, v63
	v_fma_f32 v60, v112, v96, -v9
	v_add_f32_e32 v9, v124, v125
	v_fma_f32 v44, v44, v63, -v11
	v_fma_f32 v45, v45, v61, -v37
	;; [unrolled: 1-line block ×3, first 2 shown]
	v_mul_f32_e32 v61, v48, v99
	v_mul_u32_u24_sdwa v10, v22, v5 dst_sel:DWORD dst_unused:UNUSED_PAD src0_sel:WORD_0 src1_sel:DWORD
	v_lshlrev_b32_sdwa v11, v25, v33 dst_sel:DWORD dst_unused:UNUSED_PAD src0_sel:DWORD src1_sel:BYTE_0
	v_add_f32_e32 v12, v21, v124
	v_fma_f32 v48, v48, v98, -v7
	v_fmac_f32_e32 v21, -0.5, v9
	v_sub_f32_e32 v7, v100, v8
	v_fmac_f32_e32 v61, v6, v98
	v_add3_u32 v62, 0, v10, v11
	v_add_f32_e32 v6, v12, v125
	v_mul_u32_u24_sdwa v10, v30, v5 dst_sel:DWORD dst_unused:UNUSED_PAD src0_sel:WORD_0 src1_sel:DWORD
	v_fmamk_f32 v9, v7, 0xbf5db3d7, v21
	v_lshlrev_b32_sdwa v11, v25, v31 dst_sel:DWORD dst_unused:UNUSED_PAD src0_sel:DWORD src1_sel:BYTE_0
	ds_read_b32 v63, v74
	ds_read_b32 v64, v24
	;; [unrolled: 1-line block ×9, first 2 shown]
	s_waitcnt lgkmcnt(0)
	s_barrier
	buffer_gl0_inv
	v_fmac_f32_e32 v21, 0x3f5db3d7, v7
	v_add_f32_e32 v7, v110, v111
	v_add_f32_e32 v12, v19, v110
	ds_write2_b32 v62, v6, v9 offset1:9
	v_add_f32_e32 v9, v103, v113
	v_add3_u32 v99, 0, v10, v11
	v_mul_u32_u24_sdwa v10, v32, v5 dst_sel:DWORD dst_unused:UNUSED_PAD src0_sel:WORD_0 src1_sel:DWORD
	v_lshlrev_b32_sdwa v11, v25, v36 dst_sel:DWORD dst_unused:UNUSED_PAD src0_sel:DWORD src1_sel:BYTE_0
	v_fmac_f32_e32 v19, -0.5, v7
	v_add_f32_e32 v6, v12, v111
	v_sub_f32_e32 v7, v101, v102
	v_add_f32_e32 v12, v20, v103
	v_fmac_f32_e32 v20, -0.5, v9
	v_add_f32_e32 v9, v127, v50
	v_add3_u32 v105, 0, v10, v11
	v_sub_f32_e32 v10, v104, v126
	ds_write_b32 v62, v21 offset:72
	v_fmamk_f32 v21, v7, 0xbf5db3d7, v19
	v_fmac_f32_e32 v19, 0x3f5db3d7, v7
	v_add_f32_e32 v7, v12, v113
	v_add_f32_e32 v11, v18, v127
	v_mul_u32_u24_sdwa v5, v34, v5 dst_sel:DWORD dst_unused:UNUSED_PAD src0_sel:WORD_0 src1_sel:DWORD
	v_lshlrev_b32_sdwa v12, v25, v114 dst_sel:DWORD dst_unused:UNUSED_PAD src0_sel:DWORD src1_sel:BYTE_0
	v_fmac_f32_e32 v18, -0.5, v9
	v_sub_f32_e32 v9, v49, v51
	v_fmamk_f32 v22, v10, 0xbf5db3d7, v20
	v_fmac_f32_e32 v20, 0x3f5db3d7, v10
	v_add3_u32 v106, 0, v5, v12
	v_add_f32_e32 v5, v11, v50
	v_fmamk_f32 v10, v9, 0xbf5db3d7, v18
	ds_write2_b32 v99, v6, v21 offset1:9
	ds_write_b32 v99, v19 offset:72
	ds_write2_b32 v105, v7, v22 offset1:9
	ds_write_b32 v105, v20 offset:72
	ds_write2_b32 v106, v5, v10 offset1:9
	v_add_f32_e32 v5, v56, v52
	v_mul_u32_u24_e32 v6, 0x6c, v35
	v_lshlrev_b32_sdwa v7, v25, v116 dst_sel:DWORD dst_unused:UNUSED_PAD src0_sel:DWORD src1_sel:WORD_0
	v_fmac_f32_e32 v18, 0x3f5db3d7, v9
	v_add_f32_e32 v9, v16, v56
	v_fmac_f32_e32 v16, -0.5, v5
	v_sub_f32_e32 v5, v53, v42
	v_add3_u32 v107, 0, v6, v7
	v_add_f32_e32 v6, v54, v55
	v_mul_u32_u24_e32 v10, 0x6c, v115
	v_lshlrev_b32_sdwa v11, v25, v117 dst_sel:DWORD dst_unused:UNUSED_PAD src0_sel:DWORD src1_sel:WORD_0
	v_fmamk_f32 v12, v5, 0xbf5db3d7, v16
	v_fmac_f32_e32 v16, 0x3f5db3d7, v5
	v_add_f32_e32 v5, v59, v58
	v_add_f32_e32 v7, v9, v52
	;; [unrolled: 1-line block ×3, first 2 shown]
	v_fmac_f32_e32 v17, -0.5, v6
	v_sub_f32_e32 v6, v57, v43
	ds_write_b32 v106, v18 offset:72
	v_add3_u32 v108, 0, v10, v11
	v_add_f32_e32 v11, v15, v59
	v_mul_u32_u24_e32 v18, 0x6c, v118
	v_lshlrev_b32_sdwa v19, v25, v120 dst_sel:DWORD dst_unused:UNUSED_PAD src0_sel:DWORD src1_sel:WORD_0
	v_fmac_f32_e32 v15, -0.5, v5
	v_sub_f32_e32 v5, v45, v44
	v_fmamk_f32 v10, v6, 0xbf5db3d7, v17
	v_fmac_f32_e32 v17, 0x3f5db3d7, v6
	v_add_f32_e32 v6, v9, v55
	v_add3_u32 v109, 0, v18, v19
	v_add_f32_e32 v9, v11, v58
	v_fmamk_f32 v11, v5, 0xbf5db3d7, v15
	ds_write2_b32 v107, v7, v12 offset1:9
	ds_write_b32 v107, v16 offset:72
	ds_write2_b32 v108, v6, v10 offset1:9
	ds_write_b32 v108, v17 offset:72
	ds_write2_b32 v109, v9, v11 offset1:9
	v_add_f32_e32 v6, v39, v41
	v_fmac_f32_e32 v15, 0x3f5db3d7, v5
	v_mul_u32_u24_e32 v5, 0x6c, v119
	v_lshlrev_b32_sdwa v7, v25, v122 dst_sel:DWORD dst_unused:UNUSED_PAD src0_sel:DWORD src1_sel:WORD_0
	v_add_f32_e32 v9, v14, v39
	v_fmac_f32_e32 v14, -0.5, v6
	v_sub_f32_e32 v6, v46, v47
	v_add_f32_e32 v10, v13, v40
	v_add3_u32 v112, 0, v5, v7
	v_add_f32_e32 v5, v9, v41
	ds_write_b32 v109, v15 offset:72
	v_fmamk_f32 v9, v6, 0xbf5db3d7, v14
	v_add_f32_e32 v7, v40, v61
	v_mul_u32_u24_e32 v11, 0x6c, v121
	v_lshlrev_b32_sdwa v12, v25, v123 dst_sel:DWORD dst_unused:UNUSED_PAD src0_sel:DWORD src1_sel:WORD_0
	v_sub_f32_e32 v115, v124, v125
	ds_write2_b32 v112, v5, v9 offset1:9
	v_add_f32_e32 v5, v10, v61
	v_add_f32_e32 v10, v100, v8
	v_fmac_f32_e32 v13, -0.5, v7
	v_sub_f32_e32 v7, v60, v48
	v_add_f32_e32 v9, v63, v100
	v_add_f32_e32 v116, v101, v102
	v_fmac_f32_e32 v63, -0.5, v10
	v_fmac_f32_e32 v14, 0x3f5db3d7, v6
	v_add3_u32 v114, 0, v11, v12
	v_fmamk_f32 v6, v7, 0xbf5db3d7, v13
	v_fmac_f32_e32 v13, 0x3f5db3d7, v7
	v_add_f32_e32 v100, v9, v8
	v_fmamk_f32 v117, v115, 0x3f5db3d7, v63
	v_add_f32_e32 v101, v64, v101
	v_fmac_f32_e32 v64, -0.5, v116
	v_sub_f32_e32 v110, v110, v111
	v_fmac_f32_e32 v63, 0xbf5db3d7, v115
	ds_write_b32 v112, v14 offset:72
	ds_write2_b32 v114, v5, v6 offset1:9
	ds_write_b32 v114, v13 offset:72
	s_waitcnt lgkmcnt(0)
	s_barrier
	buffer_gl0_inv
	ds_read_b32 v37, v74
	ds_read_b32 v38, v24
	ds_read_b32 v36, v84
	ds_read_b32 v35, v90
	ds_read_b32 v33, v87
	ds_read_b32 v34, v88
	ds_read_b32 v32, v89
	ds_read_b32 v31, v86
	ds_read_b32 v30, v85
	ds_read2_b32 v[21:22], v78 offset0:55 offset1:118
	ds_read2_b32 v[7:8], v77 offset0:47 offset1:110
	;; [unrolled: 1-line block ×9, first 2 shown]
	s_waitcnt lgkmcnt(0)
	s_barrier
	buffer_gl0_inv
	ds_write2_b32 v62, v100, v117 offset1:9
	ds_write_b32 v62, v63 offset:72
	v_add_f32_e32 v63, v101, v102
	v_fmamk_f32 v100, v110, 0x3f5db3d7, v64
	v_fmac_f32_e32 v64, 0xbf5db3d7, v110
	v_add_f32_e32 v62, v104, v126
	ds_write2_b32 v99, v63, v100 offset1:9
	ds_write_b32 v99, v64 offset:72
	v_add_f32_e32 v63, v49, v51
	v_add_f32_e32 v101, v92, v104
	v_fmac_f32_e32 v92, -0.5, v62
	v_sub_f32_e32 v62, v103, v113
	v_add_f32_e32 v49, v93, v49
	v_fmac_f32_e32 v93, -0.5, v63
	v_sub_f32_e32 v50, v127, v50
	v_add_f32_e32 v64, v101, v126
	v_fmamk_f32 v99, v62, 0x3f5db3d7, v92
	v_fmac_f32_e32 v92, 0xbf5db3d7, v62
	v_add_f32_e32 v62, v53, v42
	v_add_f32_e32 v49, v49, v51
	v_fmamk_f32 v51, v50, 0x3f5db3d7, v93
	v_fmac_f32_e32 v93, 0xbf5db3d7, v50
	ds_write2_b32 v105, v64, v99 offset1:9
	ds_write_b32 v105, v92 offset:72
	v_add_f32_e32 v50, v94, v53
	v_fmac_f32_e32 v94, -0.5, v62
	v_sub_f32_e32 v52, v56, v52
	ds_write2_b32 v106, v49, v51 offset1:9
	ds_write_b32 v106, v93 offset:72
	v_add_f32_e32 v49, v57, v43
	v_add_f32_e32 v42, v50, v42
	;; [unrolled: 1-line block ×3, first 2 shown]
	v_fmamk_f32 v50, v52, 0x3f5db3d7, v94
	v_fmac_f32_e32 v94, 0xbf5db3d7, v52
	v_fmac_f32_e32 v95, -0.5, v49
	v_sub_f32_e32 v49, v54, v55
	ds_write2_b32 v107, v42, v50 offset1:9
	ds_write_b32 v107, v94 offset:72
	v_add_f32_e32 v42, v45, v44
	v_add_f32_e32 v43, v51, v43
	v_fmamk_f32 v50, v49, 0x3f5db3d7, v95
	v_fmac_f32_e32 v95, 0xbf5db3d7, v49
	v_add_f32_e32 v45, v96, v45
	v_fmac_f32_e32 v96, -0.5, v42
	v_sub_f32_e32 v42, v59, v58
	ds_write2_b32 v108, v43, v50 offset1:9
	ds_write_b32 v108, v95 offset:72
	v_add_f32_e32 v43, v97, v46
	v_add_f32_e32 v46, v46, v47
	;; [unrolled: 1-line block ×3, first 2 shown]
	v_fmamk_f32 v45, v42, 0x3f5db3d7, v96
	v_fmac_f32_e32 v96, 0xbf5db3d7, v42
	v_add_f32_e32 v42, v43, v47
	v_add_f32_e32 v43, v60, v48
	v_fmac_f32_e32 v97, -0.5, v46
	v_sub_f32_e32 v39, v39, v41
	v_add_f32_e32 v41, v98, v60
	v_sub_f32_e32 v40, v40, v61
	v_fmac_f32_e32 v98, -0.5, v43
	ds_write2_b32 v109, v44, v45 offset1:9
	v_fmamk_f32 v43, v39, 0x3f5db3d7, v97
	v_fmac_f32_e32 v97, 0xbf5db3d7, v39
	v_add_f32_e32 v41, v41, v48
	v_fmamk_f32 v46, v40, 0x3f5db3d7, v98
	v_mul_lo_u16 v39, v28, 27
	ds_write_b32 v109, v96 offset:72
	ds_write2_b32 v112, v42, v43 offset1:9
	ds_write_b32 v112, v97 offset:72
	ds_write2_b32 v114, v41, v46 offset1:9
	v_mul_lo_u16 v41, v29, 27
	v_sub_nc_u16 v39, v65, v39
	v_mov_b32_e32 v60, 0x2f69
	v_fmac_f32_e32 v98, 0xbf5db3d7, v40
	v_sub_nc_u16 v42, v67, v41
	v_lshlrev_b32_sdwa v40, v23, v39 dst_sel:DWORD dst_unused:UNUSED_PAD src0_sel:DWORD src1_sel:BYTE_0
	v_mul_lo_u16 v41, v26, 19
	v_mul_u32_u24_sdwa v43, v69, v60 dst_sel:DWORD dst_unused:UNUSED_PAD src0_sel:WORD_0 src1_sel:DWORD
	ds_write_b32 v114, v98 offset:72
	v_lshlrev_b32_sdwa v48, v23, v42 dst_sel:DWORD dst_unused:UNUSED_PAD src0_sel:DWORD src1_sel:BYTE_0
	s_waitcnt lgkmcnt(0)
	s_barrier
	buffer_gl0_inv
	s_clause 0x1
	global_load_dwordx4 v[44:47], v40, s[8:9] offset:192
	global_load_dwordx4 v[48:51], v48, s[8:9] offset:192
	v_mul_lo_u16 v40, v27, 19
	v_lshrrev_b16 v41, 9, v41
	v_lshrrev_b32_e32 v52, 16, v43
	v_mul_u32_u24_sdwa v43, v71, v60 dst_sel:DWORD dst_unused:UNUSED_PAD src0_sel:WORD_0 src1_sel:DWORD
	v_mul_u32_u24_sdwa v63, v73, v60 dst_sel:DWORD dst_unused:UNUSED_PAD src0_sel:WORD_0 src1_sel:DWORD
	v_lshrrev_b16 v40, 9, v40
	v_mul_lo_u16 v53, v41, 27
	v_sub_nc_u16 v55, v69, v52
	v_lshrrev_b32_e32 v56, 16, v43
	v_lshrrev_b32_e32 v63, 16, v63
	v_mul_lo_u16 v54, v40, 27
	v_sub_nc_u16 v64, v68, v53
	v_lshrrev_b16 v53, 1, v55
	v_mul_u32_u24_sdwa v55, v70, v60 dst_sel:DWORD dst_unused:UNUSED_PAD src0_sel:WORD_0 src1_sel:DWORD
	v_mul_u32_u24_sdwa v60, v75, v60 dst_sel:DWORD dst_unused:UNUSED_PAD src0_sel:WORD_0 src1_sel:DWORD
	v_sub_nc_u16 v43, v66, v54
	v_sub_nc_u16 v54, v71, v56
	v_add_nc_u16 v59, v53, v52
	v_lshrrev_b32_e32 v62, 16, v55
	v_lshlrev_b32_sdwa v57, v23, v64 dst_sel:DWORD dst_unused:UNUSED_PAD src0_sel:DWORD src1_sel:BYTE_0
	v_lshlrev_b32_sdwa v58, v23, v43 dst_sel:DWORD dst_unused:UNUSED_PAD src0_sel:DWORD src1_sel:BYTE_0
	v_lshrrev_b16 v61, 1, v54
	v_lshrrev_b16 v114, 4, v59
	v_sub_nc_u16 v92, v70, v62
	global_load_dwordx4 v[52:55], v57, s[8:9] offset:192
	v_lshrrev_b32_e32 v96, 16, v60
	v_add_nc_u16 v61, v61, v56
	v_mul_lo_u16 v93, v114, 27
	v_mul_lo_u16 v26, 0xcb, v26
	v_lshrrev_b16 v115, 4, v61
	v_lshrrev_b16 v61, 1, v92
	v_sub_nc_u16 v92, v73, v63
	v_sub_nc_u16 v116, v69, v93
	v_mul_lo_u16 v93, v115, 27
	v_add_nc_u16 v61, v61, v62
	v_lshrrev_b16 v60, 1, v92
	v_lshlrev_b32_sdwa v62, v23, v116 dst_sel:DWORD dst_unused:UNUSED_PAD src0_sel:DWORD src1_sel:WORD_0
	v_sub_nc_u16 v92, v75, v96
	v_sub_nc_u16 v117, v71, v93
	v_lshrrev_b16 v118, 4, v61
	v_add_nc_u16 v93, v60, v63
	s_clause 0x1
	global_load_dwordx4 v[60:63], v62, s[8:9] offset:192
	global_load_dwordx4 v[56:59], v58, s[8:9] offset:192
	v_lshrrev_b16 v97, 1, v92
	v_mul_lo_u16 v98, v118, 27
	v_lshrrev_b16 v119, 4, v93
	v_lshlrev_b32_sdwa v94, v23, v117 dst_sel:DWORD dst_unused:UNUSED_PAD src0_sel:DWORD src1_sel:WORD_0
	v_add_nc_u16 v96, v97, v96
	v_sub_nc_u16 v120, v70, v98
	v_mul_lo_u16 v97, v119, 27
	global_load_dwordx4 v[92:95], v94, s[8:9] offset:192
	v_lshrrev_b16 v121, 4, v96
	v_lshlrev_b32_sdwa v96, v23, v120 dst_sel:DWORD dst_unused:UNUSED_PAD src0_sel:DWORD src1_sel:WORD_0
	v_sub_nc_u16 v122, v73, v97
	v_mul_lo_u16 v100, v121, 27
	global_load_dwordx4 v[96:99], v96, s[8:9] offset:192
	v_lshlrev_b32_sdwa v101, v23, v122 dst_sel:DWORD dst_unused:UNUSED_PAD src0_sel:DWORD src1_sel:WORD_0
	v_sub_nc_u16 v123, v75, v100
	global_load_dwordx4 v[100:103], v101, s[8:9] offset:192
	v_lshlrev_b32_sdwa v104, v23, v123 dst_sel:DWORD dst_unused:UNUSED_PAD src0_sel:DWORD src1_sel:WORD_0
	global_load_dwordx4 v[104:107], v104, s[8:9] offset:192
	ds_read2_b32 v[108:109], v78 offset0:55 offset1:118
	ds_read2_b32 v[110:111], v77 offset0:47 offset1:110
	;; [unrolled: 1-line block ×3, first 2 shown]
	s_waitcnt vmcnt(8) lgkmcnt(2)
	v_mul_f32_e32 v124, v108, v45
	v_mul_f32_e32 v45, v21, v45
	s_waitcnt lgkmcnt(1)
	v_mul_f32_e32 v125, v111, v47
	v_mul_f32_e32 v47, v8, v47
	s_waitcnt vmcnt(7) lgkmcnt(0)
	v_mul_f32_e32 v126, v112, v51
	v_fmac_f32_e32 v124, v21, v44
	v_fma_f32 v108, v108, v44, -v45
	ds_read2_b32 v[44:45], v78 offset0:181 offset1:244
	v_fmac_f32_e32 v125, v8, v46
	v_fma_f32 v8, v111, v46, -v47
	v_mul_f32_e32 v111, v109, v49
	v_mul_f32_e32 v21, v22, v49
	;; [unrolled: 1-line block ×3, first 2 shown]
	v_fmac_f32_e32 v126, v19, v50
	v_fmac_f32_e32 v111, v22, v48
	v_fma_f32 v51, v109, v48, -v21
	ds_read2_b32 v[21:22], v79 offset0:43 offset1:106
	v_fma_f32 v50, v112, v50, -v46
	s_waitcnt vmcnt(6)
	v_mul_f32_e32 v109, v113, v55
	v_mul_f32_e32 v46, v20, v55
	s_waitcnt lgkmcnt(1)
	v_mul_f32_e32 v55, v44, v53
	v_mul_f32_e32 v47, v17, v53
	v_fmac_f32_e32 v109, v20, v54
	ds_read2_b32 v[19:20], v76 offset0:51 offset1:114
	v_fma_f32 v53, v113, v54, -v46
	v_fmac_f32_e32 v55, v17, v52
	v_fma_f32 v44, v44, v52, -v47
	ds_read2_b32 v[46:47], v79 offset0:169 offset1:232
	s_waitcnt vmcnt(4)
	v_mul_f32_e32 v52, v45, v57
	v_mul_f32_e32 v17, v18, v57
	s_waitcnt lgkmcnt(2)
	v_mul_f32_e32 v54, v21, v59
	v_mul_f32_e32 v48, v15, v59
	v_fmac_f32_e32 v52, v18, v56
	v_fma_f32 v45, v45, v56, -v17
	ds_read2_b32 v[17:18], v76 offset0:177 offset1:240
	v_fmac_f32_e32 v54, v15, v58
	v_mul_f32_e32 v56, v22, v63
	v_mul_f32_e32 v15, v16, v63
	v_fma_f32 v57, v21, v58, -v48
	s_waitcnt lgkmcnt(2)
	v_mul_f32_e32 v58, v19, v61
	v_mul_f32_e32 v21, v13, v61
	v_fmac_f32_e32 v56, v16, v62
	v_fma_f32 v59, v22, v62, -v15
	ds_read2_b32 v[15:16], v91 offset0:39 offset1:102
	v_fmac_f32_e32 v58, v13, v60
	s_waitcnt vmcnt(3)
	v_mul_f32_e32 v63, v20, v93
	v_mul_f32_e32 v13, v14, v93
	s_waitcnt lgkmcnt(2)
	v_mul_f32_e32 v93, v46, v95
	v_fma_f32 v60, v19, v60, -v21
	v_mul_f32_e32 v19, v11, v95
	v_fmac_f32_e32 v63, v14, v92
	v_fma_f32 v92, v20, v92, -v13
	v_fmac_f32_e32 v93, v11, v94
	s_waitcnt vmcnt(2)
	v_mul_f32_e32 v13, v9, v97
	v_fma_f32 v46, v46, v94, -v19
	s_waitcnt lgkmcnt(1)
	v_mul_f32_e32 v94, v17, v97
	s_waitcnt vmcnt(1)
	v_mul_f32_e32 v97, v18, v101
	v_mul_f32_e32 v112, v47, v99
	;; [unrolled: 1-line block ×3, first 2 shown]
	v_lshlrev_b32_sdwa v14, v25, v64 dst_sel:DWORD dst_unused:UNUSED_PAD src0_sel:DWORD src1_sel:BYTE_0
	v_fmac_f32_e32 v94, v9, v96
	v_mul_f32_e32 v9, v10, v101
	v_fmac_f32_e32 v97, v10, v100
	s_waitcnt lgkmcnt(0)
	v_mul_f32_e32 v99, v15, v103
	v_mul_f32_e32 v10, v5, v103
	s_waitcnt vmcnt(0)
	v_mul_f32_e32 v101, v110, v105
	v_fma_f32 v100, v18, v100, -v9
	v_mul_f32_e32 v9, v7, v105
	v_fmac_f32_e32 v99, v5, v102
	v_mov_b32_e32 v5, 0x144
	v_fma_f32 v47, v47, v98, -v11
	v_fma_f32 v102, v15, v102, -v10
	;; [unrolled: 1-line block ×3, first 2 shown]
	v_add_f32_e32 v9, v124, v125
	v_mul_u32_u24_sdwa v10, v28, v5 dst_sel:DWORD dst_unused:UNUSED_PAD src0_sel:WORD_0 src1_sel:DWORD
	v_lshlrev_b32_sdwa v11, v25, v39 dst_sel:DWORD dst_unused:UNUSED_PAD src0_sel:DWORD src1_sel:BYTE_0
	v_fmac_f32_e32 v112, v12, v98
	v_fmac_f32_e32 v101, v7, v104
	v_mul_f32_e32 v104, v16, v107
	v_mul_f32_e32 v7, v6, v107
	v_add_f32_e32 v12, v37, v124
	v_fmac_f32_e32 v37, -0.5, v9
	v_add_f32_e32 v9, v111, v126
	v_add3_u32 v105, 0, v10, v11
	v_mul_u32_u24_sdwa v10, v29, v5 dst_sel:DWORD dst_unused:UNUSED_PAD src0_sel:WORD_0 src1_sel:DWORD
	v_lshlrev_b32_sdwa v11, v25, v42 dst_sel:DWORD dst_unused:UNUSED_PAD src0_sel:DWORD src1_sel:BYTE_0
	v_fmac_f32_e32 v104, v6, v106
	v_fma_f32 v39, v16, v106, -v7
	v_add_f32_e32 v6, v12, v125
	v_sub_f32_e32 v7, v108, v8
	v_add_f32_e32 v12, v38, v111
	v_fmac_f32_e32 v38, -0.5, v9
	v_add_f32_e32 v9, v55, v109
	v_add3_u32 v42, 0, v10, v11
	v_sub_f32_e32 v10, v51, v50
	v_fma_f32 v98, v17, v96, -v13
	v_fmamk_f32 v13, v7, 0xbf5db3d7, v37
	v_fmac_f32_e32 v37, 0x3f5db3d7, v7
	v_add_f32_e32 v7, v12, v126
	v_add_f32_e32 v11, v36, v55
	v_mul_u32_u24_sdwa v12, v41, v5 dst_sel:DWORD dst_unused:UNUSED_PAD src0_sel:WORD_0 src1_sel:DWORD
	v_fmac_f32_e32 v36, -0.5, v9
	v_sub_f32_e32 v9, v44, v53
	v_fmamk_f32 v15, v10, 0xbf5db3d7, v38
	v_fmac_f32_e32 v38, 0x3f5db3d7, v10
	v_add3_u32 v41, 0, v12, v14
	v_add_f32_e32 v10, v11, v109
	v_fmamk_f32 v11, v9, 0xbf5db3d7, v36
	ds_read_b32 v106, v74
	ds_read_b32 v107, v24
	;; [unrolled: 1-line block ×9, first 2 shown]
	s_waitcnt lgkmcnt(0)
	s_barrier
	buffer_gl0_inv
	ds_write2_b32 v105, v6, v13 offset1:27
	ds_write_b32 v105, v37 offset:216
	ds_write2_b32 v42, v7, v15 offset1:27
	ds_write_b32 v42, v38 offset:216
	ds_write2_b32 v41, v10, v11 offset1:27
	v_add_f32_e32 v6, v52, v54
	v_fmac_f32_e32 v36, 0x3f5db3d7, v9
	v_mul_u32_u24_sdwa v7, v40, v5 dst_sel:DWORD dst_unused:UNUSED_PAD src0_sel:WORD_0 src1_sel:DWORD
	v_lshlrev_b32_sdwa v9, v25, v43 dst_sel:DWORD dst_unused:UNUSED_PAD src0_sel:DWORD src1_sel:BYTE_0
	v_add_f32_e32 v10, v35, v52
	v_fmac_f32_e32 v35, -0.5, v6
	v_sub_f32_e32 v6, v45, v57
	ds_write_b32 v41, v36 offset:216
	v_add3_u32 v36, 0, v7, v9
	v_add_f32_e32 v7, v10, v54
	v_add_f32_e32 v11, v33, v58
	v_fmamk_f32 v10, v6, 0xbf5db3d7, v35
	v_mul_u32_u24_sdwa v12, v114, v5 dst_sel:DWORD dst_unused:UNUSED_PAD src0_sel:WORD_0 src1_sel:DWORD
	v_lshlrev_b32_sdwa v13, v25, v116 dst_sel:DWORD dst_unused:UNUSED_PAD src0_sel:DWORD src1_sel:WORD_0
	v_add_f32_e32 v9, v58, v56
	v_fmac_f32_e32 v35, 0x3f5db3d7, v6
	ds_write2_b32 v36, v7, v10 offset1:27
	v_add_f32_e32 v10, v63, v93
	v_add3_u32 v37, 0, v12, v13
	v_add_f32_e32 v6, v11, v56
	v_mul_u32_u24_sdwa v11, v115, v5 dst_sel:DWORD dst_unused:UNUSED_PAD src0_sel:WORD_0 src1_sel:DWORD
	v_lshlrev_b32_sdwa v12, v25, v117 dst_sel:DWORD dst_unused:UNUSED_PAD src0_sel:DWORD src1_sel:WORD_0
	v_fmac_f32_e32 v33, -0.5, v9
	v_sub_f32_e32 v9, v60, v59
	v_add_f32_e32 v13, v34, v63
	v_fmac_f32_e32 v34, -0.5, v10
	v_add_f32_e32 v10, v94, v112
	ds_write_b32 v36, v35 offset:216
	v_add3_u32 v35, 0, v11, v12
	v_sub_f32_e32 v11, v92, v46
	v_fmamk_f32 v7, v9, 0xbf5db3d7, v33
	v_fmac_f32_e32 v33, 0x3f5db3d7, v9
	v_add_f32_e32 v9, v13, v93
	v_add_f32_e32 v12, v32, v94
	v_mul_u32_u24_sdwa v13, v118, v5 dst_sel:DWORD dst_unused:UNUSED_PAD src0_sel:WORD_0 src1_sel:DWORD
	v_lshlrev_b32_sdwa v14, v25, v120 dst_sel:DWORD dst_unused:UNUSED_PAD src0_sel:DWORD src1_sel:WORD_0
	v_fmac_f32_e32 v32, -0.5, v10
	v_sub_f32_e32 v10, v98, v47
	v_fmamk_f32 v15, v11, 0xbf5db3d7, v34
	v_fmac_f32_e32 v34, 0x3f5db3d7, v11
	v_add3_u32 v38, 0, v13, v14
	v_add_f32_e32 v11, v12, v112
	v_fmamk_f32 v12, v10, 0xbf5db3d7, v32
	ds_write2_b32 v37, v6, v7 offset1:27
	ds_write_b32 v37, v33 offset:216
	ds_write2_b32 v35, v9, v15 offset1:27
	ds_write_b32 v35, v34 offset:216
	ds_write2_b32 v38, v11, v12 offset1:27
	v_add_f32_e32 v6, v97, v99
	v_fmac_f32_e32 v32, 0x3f5db3d7, v10
	v_mul_u32_u24_sdwa v7, v119, v5 dst_sel:DWORD dst_unused:UNUSED_PAD src0_sel:WORD_0 src1_sel:DWORD
	v_lshlrev_b32_sdwa v9, v25, v122 dst_sel:DWORD dst_unused:UNUSED_PAD src0_sel:DWORD src1_sel:WORD_0
	v_add_f32_e32 v10, v31, v97
	v_fmac_f32_e32 v31, -0.5, v6
	v_sub_f32_e32 v6, v100, v102
	ds_write_b32 v38, v32 offset:216
	v_add3_u32 v40, 0, v7, v9
	v_add_f32_e32 v7, v10, v99
	v_add_f32_e32 v9, v101, v104
	v_fmamk_f32 v10, v6, 0xbf5db3d7, v31
	v_add_f32_e32 v11, v30, v101
	v_mul_u32_u24_sdwa v5, v121, v5 dst_sel:DWORD dst_unused:UNUSED_PAD src0_sel:WORD_0 src1_sel:DWORD
	v_lshlrev_b32_sdwa v12, v25, v123 dst_sel:DWORD dst_unused:UNUSED_PAD src0_sel:DWORD src1_sel:WORD_0
	v_fmac_f32_e32 v30, -0.5, v9
	ds_write2_b32 v40, v7, v10 offset1:27
	v_add_f32_e32 v10, v108, v8
	v_sub_f32_e32 v9, v103, v39
	v_fmac_f32_e32 v31, 0x3f5db3d7, v6
	v_add_f32_e32 v7, v106, v108
	v_sub_f32_e32 v32, v124, v125
	v_fmac_f32_e32 v106, -0.5, v10
	v_add3_u32 v43, 0, v5, v12
	v_add_f32_e32 v5, v11, v104
	v_fmamk_f32 v6, v9, 0xbf5db3d7, v30
	ds_write_b32 v40, v31 offset:216
	v_fmac_f32_e32 v30, 0x3f5db3d7, v9
	v_add_f32_e32 v31, v7, v8
	v_add_f32_e32 v33, v51, v50
	v_fmamk_f32 v34, v32, 0x3f5db3d7, v106
	v_fmac_f32_e32 v106, 0xbf5db3d7, v32
	ds_write2_b32 v43, v5, v6 offset1:27
	ds_write_b32 v43, v30 offset:216
	s_waitcnt lgkmcnt(0)
	s_barrier
	buffer_gl0_inv
	ds_read2_b32 v[48:49], v78 offset0:55 offset1:118
	ds_read2_b32 v[6:7], v77 offset0:47 offset1:110
	;; [unrolled: 1-line block ×8, first 2 shown]
	ds_read_b32 v30, v74
	ds_read_b32 v29, v24
	;; [unrolled: 1-line block ×8, first 2 shown]
	ds_read2_b32 v[9:10], v91 offset0:39 offset1:102
	ds_read_b32 v5, v85
	s_waitcnt lgkmcnt(0)
	s_barrier
	buffer_gl0_inv
	v_add_f32_e32 v32, v107, v51
	v_fmac_f32_e32 v107, -0.5, v33
	v_sub_f32_e32 v33, v111, v126
	ds_write2_b32 v105, v31, v34 offset1:27
	ds_write_b32 v105, v106 offset:216
	v_add_f32_e32 v31, v44, v53
	v_add_f32_e32 v32, v32, v50
	v_lshrrev_b16 v114, 14, v26
	v_fmamk_f32 v34, v33, 0x3f5db3d7, v107
	v_fmac_f32_e32 v107, 0xbf5db3d7, v33
	v_add_f32_e32 v33, v110, v44
	v_fmac_f32_e32 v110, -0.5, v31
	v_sub_f32_e32 v31, v55, v109
	ds_write2_b32 v42, v32, v34 offset1:27
	ds_write_b32 v42, v107 offset:216
	v_add_f32_e32 v32, v45, v57
	v_add_f32_e32 v33, v33, v53
	v_fmamk_f32 v34, v31, 0x3f5db3d7, v110
	v_fmac_f32_e32 v110, 0xbf5db3d7, v31
	v_add_f32_e32 v31, v113, v45
	v_fmac_f32_e32 v113, -0.5, v32
	v_sub_f32_e32 v32, v52, v54
	ds_write2_b32 v41, v33, v34 offset1:27
	ds_write_b32 v41, v110 offset:216
	v_add_f32_e32 v33, v60, v59
	v_add_f32_e32 v31, v31, v57
	v_sub_f32_e32 v41, v101, v104
	v_fmamk_f32 v34, v32, 0x3f5db3d7, v113
	v_fmac_f32_e32 v113, 0xbf5db3d7, v32
	v_add_f32_e32 v32, v127, v60
	v_fmac_f32_e32 v127, -0.5, v33
	v_sub_f32_e32 v33, v58, v56
	ds_write2_b32 v36, v31, v34 offset1:27
	v_add_f32_e32 v31, v92, v46
	v_add_f32_e32 v32, v32, v59
	ds_write_b32 v36, v113 offset:216
	v_fmamk_f32 v34, v33, 0x3f5db3d7, v127
	v_add_f32_e32 v36, v128, v92
	v_fmac_f32_e32 v128, -0.5, v31
	v_sub_f32_e32 v31, v63, v93
	v_fmac_f32_e32 v127, 0xbf5db3d7, v33
	ds_write2_b32 v37, v32, v34 offset1:27
	v_add_f32_e32 v32, v98, v47
	v_add_f32_e32 v33, v36, v46
	v_fmamk_f32 v34, v31, 0x3f5db3d7, v128
	v_add_f32_e32 v36, v129, v98
	v_fmac_f32_e32 v128, 0xbf5db3d7, v31
	v_fmac_f32_e32 v129, -0.5, v32
	v_sub_f32_e32 v32, v94, v112
	v_add_f32_e32 v31, v100, v102
	ds_write_b32 v37, v127 offset:216
	ds_write2_b32 v35, v33, v34 offset1:27
	v_add_f32_e32 v33, v36, v47
	v_fmamk_f32 v34, v32, 0x3f5db3d7, v129
	v_fmac_f32_e32 v129, 0xbf5db3d7, v32
	v_add_f32_e32 v32, v103, v39
	v_add_f32_e32 v36, v130, v100
	v_fmac_f32_e32 v130, -0.5, v31
	v_sub_f32_e32 v31, v97, v99
	v_add_f32_e32 v37, v131, v103
	v_fmac_f32_e32 v131, -0.5, v32
	v_mov_b32_e32 v32, 0
	ds_write_b32 v35, v128 offset:216
	ds_write2_b32 v38, v33, v34 offset1:27
	v_fmamk_f32 v42, v31, 0x3f5db3d7, v130
	v_fmac_f32_e32 v130, 0xbf5db3d7, v31
	v_lshlrev_b32_e32 v31, 1, v65
	v_add_f32_e32 v36, v36, v102
	v_add_f32_e32 v37, v37, v39
	v_fmamk_f32 v39, v41, 0x3f5db3d7, v131
	ds_write_b32 v38, v129 offset:216
	v_lshlrev_b64 v[33:34], 3, v[31:32]
	v_subrev_nc_u32_e32 v31, 18, v65
	ds_write2_b32 v40, v36, v42 offset1:27
	ds_write_b32 v40, v130 offset:216
	ds_write2_b32 v43, v37, v39 offset1:27
	v_mul_lo_u16 v37, 0xcb, v27
	v_mov_b32_e32 v47, 0x6523
	v_fmac_f32_e32 v131, 0xbf5db3d7, v41
	v_cndmask_b32_e64 v113, v31, v67, s0
	v_add_co_u32 v33, s0, s8, v33
	v_add_co_ci_u32_e64 v34, s0, s9, v34, s0
	v_lshlrev_b32_e32 v31, 1, v113
	v_lshrrev_b16 v115, 14, v37
	v_mul_u32_u24_sdwa v40, v69, v47 dst_sel:DWORD dst_unused:UNUSED_PAD src0_sel:WORD_0 src1_sel:DWORD
	ds_write_b32 v43, v131 offset:216
	s_waitcnt lgkmcnt(0)
	v_lshlrev_b64 v[35:36], 3, v[31:32]
	s_barrier
	buffer_gl0_inv
	v_mul_lo_u16 v39, 0x51, v114
	global_load_dwordx4 v[31:34], v[33:34], off offset:624
	v_add_co_u32 v26, s0, s8, v35
	v_add_co_ci_u32_e64 v27, s0, s9, v36, s0
	v_sub_nc_u16 v116, v68, v39
	v_cmp_lt_u32_e64 s0, 17, v65
	global_load_dwordx4 v[35:38], v[26:27], off offset:624
	v_mul_lo_u16 v26, 0x51, v115
	v_lshrrev_b32_e32 v27, 21, v40
	v_lshlrev_b32_sdwa v39, v23, v116 dst_sel:DWORD dst_unused:UNUSED_PAD src0_sel:DWORD src1_sel:BYTE_0
	v_sub_nc_u16 v117, v66, v26
	v_mul_lo_u16 v26, 0x51, v27
	v_mul_u32_u24_sdwa v27, v71, v47 dst_sel:DWORD dst_unused:UNUSED_PAD src0_sel:WORD_0 src1_sel:DWORD
	global_load_dwordx4 v[39:42], v39, s[8:9] offset:624
	v_lshlrev_b32_sdwa v43, v23, v117 dst_sel:DWORD dst_unused:UNUSED_PAD src0_sel:DWORD src1_sel:BYTE_0
	v_sub_nc_u16 v26, v69, v26
	v_lshrrev_b32_e32 v118, 21, v27
	v_mul_u32_u24_sdwa v27, v70, v47 dst_sel:DWORD dst_unused:UNUSED_PAD src0_sel:WORD_0 src1_sel:DWORD
	global_load_dwordx4 v[43:46], v43, s[8:9] offset:624
	v_and_b32_e32 v119, 0xffff, v26
	v_mul_lo_u16 v26, 0x51, v118
	v_lshrrev_b32_e32 v121, 21, v27
	v_mul_u32_u24_sdwa v27, v73, v47 dst_sel:DWORD dst_unused:UNUSED_PAD src0_sel:WORD_0 src1_sel:DWORD
	v_mul_u32_u24_sdwa v47, v75, v47 dst_sel:DWORD dst_unused:UNUSED_PAD src0_sel:WORD_0 src1_sel:DWORD
	v_lshlrev_b32_e32 v50, 4, v119
	v_sub_nc_u16 v120, v71, v26
	v_lshrrev_b32_e32 v122, 21, v27
	global_load_dwordx4 v[51:54], v50, s[8:9] offset:624
	v_lshlrev_b32_sdwa v26, v23, v120 dst_sel:DWORD dst_unused:UNUSED_PAD src0_sel:DWORD src1_sel:WORD_0
	v_mul_lo_u16 v27, 0x51, v122
	global_load_dwordx4 v[57:60], v26, s[8:9] offset:624
	v_lshrrev_b32_e32 v26, 21, v47
	v_mul_lo_u16 v50, 0x51, v121
	v_sub_nc_u16 v124, v73, v27
	v_mul_lo_u16 v26, 0x51, v26
	v_sub_nc_u16 v123, v70, v50
	v_sub_nc_u16 v26, v75, v26
	v_lshlrev_b32_sdwa v47, v23, v123 dst_sel:DWORD dst_unused:UNUSED_PAD src0_sel:DWORD src1_sel:WORD_0
	v_lshlrev_b32_sdwa v23, v23, v124 dst_sel:DWORD dst_unused:UNUSED_PAD src0_sel:DWORD src1_sel:WORD_0
	v_and_b32_e32 v125, 0xffff, v26
	s_clause 0x1
	global_load_dwordx4 v[99:102], v47, s[8:9] offset:624
	global_load_dwordx4 v[103:106], v23, s[8:9] offset:624
	v_lshlrev_b32_e32 v23, 4, v125
	global_load_dwordx4 v[107:110], v23, s[8:9] offset:624
	ds_read2_b32 v[26:27], v78 offset0:55 offset1:118
	ds_read2_b32 v[55:56], v77 offset0:47 offset1:110
	;; [unrolled: 1-line block ×4, first 2 shown]
	s_waitcnt vmcnt(8) lgkmcnt(3)
	v_mul_f32_e32 v93, v26, v32
	v_mul_f32_e32 v23, v48, v32
	s_waitcnt lgkmcnt(2)
	v_mul_f32_e32 v94, v56, v34
	v_mul_f32_e32 v34, v7, v34
	v_fmac_f32_e32 v93, v48, v31
	v_fma_f32 v98, v26, v31, -v23
	v_fmac_f32_e32 v94, v7, v33
	ds_read2_b32 v[31:32], v79 offset0:43 offset1:106
	s_waitcnt vmcnt(7)
	v_mul_f32_e32 v7, v49, v36
	v_mul_f32_e32 v48, v27, v36
	v_fma_f32 v64, v56, v33, -v34
	v_mul_f32_e32 v23, v61, v38
	ds_read2_b32 v[33:34], v79 offset0:169 offset1:232
	v_fma_f32 v97, v27, v35, -v7
	ds_read2_b32 v[26:27], v76 offset0:51 offset1:114
	s_waitcnt lgkmcnt(4)
	v_mul_f32_e32 v50, v69, v38
	v_fmac_f32_e32 v48, v49, v35
	s_waitcnt vmcnt(6)
	v_mul_f32_e32 v7, v62, v42
	v_mul_f32_e32 v56, v70, v42
	v_fma_f32 v73, v69, v37, -v23
	s_waitcnt lgkmcnt(3)
	v_mul_f32_e32 v69, v111, v40
	v_mul_f32_e32 v23, v95, v40
	v_fma_f32 v70, v70, v41, -v7
	ds_read2_b32 v[35:36], v76 offset0:177 offset1:240
	s_waitcnt vmcnt(5)
	v_mul_f32_e32 v7, v96, v44
	v_fmac_f32_e32 v50, v61, v37
	v_mul_f32_e32 v37, v112, v44
	v_fmac_f32_e32 v69, v95, v39
	v_fma_f32 v95, v111, v39, -v23
	v_fma_f32 v92, v112, v43, -v7
	s_waitcnt lgkmcnt(3)
	v_mul_f32_e32 v47, v31, v46
	ds_read2_b32 v[111:112], v91 offset0:39 offset1:102
	v_fmac_f32_e32 v56, v62, v41
	v_mul_f32_e32 v23, v17, v46
	v_fmac_f32_e32 v37, v96, v43
	s_waitcnt vmcnt(4)
	v_mul_f32_e32 v7, v18, v54
	v_fmac_f32_e32 v47, v17, v45
	s_waitcnt lgkmcnt(2)
	v_mul_f32_e32 v61, v26, v52
	v_mul_f32_e32 v17, v15, v52
	;; [unrolled: 1-line block ×3, first 2 shown]
	v_fma_f32 v75, v32, v53, -v7
	s_waitcnt vmcnt(3)
	v_mul_f32_e32 v7, v16, v58
	v_fmac_f32_e32 v61, v15, v51
	v_fma_f32 v96, v26, v51, -v17
	v_fma_f32 v71, v31, v45, -v23
	v_fmac_f32_e32 v43, v18, v53
	v_fma_f32 v62, v27, v57, -v7
	v_mul_f32_e32 v7, v13, v60
	v_mul_f32_e32 v18, v27, v58
	;; [unrolled: 1-line block ×3, first 2 shown]
	v_cndmask_b32_e64 v23, 0, 0x3cc, s0
	v_add_f32_e32 v27, v29, v48
	v_fma_f32 v51, v33, v59, -v7
	v_fmac_f32_e32 v18, v16, v57
	v_fmac_f32_e32 v41, v13, v59
	v_lshlrev_b32_sdwa v32, v25, v116 dst_sel:DWORD dst_unused:UNUSED_PAD src0_sel:DWORD src1_sel:BYTE_0
	v_cmp_gt_u32_e64 s0, 54, v65
	s_waitcnt vmcnt(2)
	v_mul_f32_e32 v7, v11, v100
	v_mul_f32_e32 v15, v14, v102
	s_waitcnt lgkmcnt(1)
	v_mul_f32_e32 v45, v35, v100
	v_mul_f32_e32 v40, v34, v102
	s_waitcnt vmcnt(1)
	v_mul_f32_e32 v13, v12, v104
	v_fma_f32 v91, v35, v99, -v7
	v_mul_f32_e32 v7, v9, v106
	v_fma_f32 v46, v34, v101, -v15
	v_fmac_f32_e32 v45, v11, v99
	s_waitcnt vmcnt(0)
	v_mul_f32_e32 v17, v55, v108
	v_mul_f32_e32 v11, v36, v104
	s_waitcnt lgkmcnt(0)
	v_mul_f32_e32 v15, v111, v106
	v_fma_f32 v16, v111, v105, -v7
	v_mul_f32_e32 v7, v6, v108
	v_fmac_f32_e32 v17, v6, v107
	v_add_f32_e32 v6, v93, v94
	v_fmac_f32_e32 v40, v14, v101
	v_fmac_f32_e32 v11, v12, v103
	;; [unrolled: 1-line block ×3, first 2 shown]
	v_mul_f32_e32 v39, v112, v110
	v_mul_f32_e32 v9, v10, v110
	v_add_f32_e32 v12, v30, v93
	v_fma_f32 v63, v55, v107, -v7
	v_fmac_f32_e32 v30, -0.5, v6
	v_sub_f32_e32 v7, v98, v64
	v_lshlrev_b32_e32 v14, 2, v113
	v_fma_f32 v38, v36, v103, -v13
	v_add_f32_e32 v13, v48, v50
	v_fmac_f32_e32 v39, v10, v109
	v_fma_f32 v52, v112, v109, -v9
	v_add_f32_e32 v6, v12, v94
	ds_read_b32 v53, v74
	ds_read_b32 v49, v24
	ds_read_b32 v44, v87
	ds_read_b32 v42, v88
	ds_read_b32 v10, v89
	ds_read_b32 v12, v86
	ds_read_b32 v54, v90
	ds_read_b32 v60, v84
	ds_read_b32 v9, v85
	v_fmamk_f32 v26, v7, 0xbf5db3d7, v30
	v_fmac_f32_e32 v30, 0x3f5db3d7, v7
	v_add3_u32 v85, 0, v23, v14
	v_mov_b32_e32 v7, 0x3cc
	v_add_f32_e32 v14, v69, v56
	v_fmac_f32_e32 v29, -0.5, v13
	v_sub_f32_e32 v23, v97, v73
	v_add_f32_e32 v13, v27, v50
	v_add_f32_e32 v27, v28, v69
	v_mul_u32_u24_sdwa v31, v114, v7 dst_sel:DWORD dst_unused:UNUSED_PAD src0_sel:WORD_0 src1_sel:DWORD
	v_fmac_f32_e32 v28, -0.5, v14
	v_sub_f32_e32 v14, v95, v70
	v_fmamk_f32 v33, v23, 0xbf5db3d7, v29
	v_fmac_f32_e32 v29, 0x3f5db3d7, v23
	v_add3_u32 v86, 0, v31, v32
	v_add_f32_e32 v23, v27, v56
	v_fmamk_f32 v27, v14, 0xbf5db3d7, v28
	s_waitcnt lgkmcnt(0)
	s_barrier
	buffer_gl0_inv
	ds_write2_b32 v74, v6, v26 offset1:81
	ds_write_b32 v74, v30 offset:648
	ds_write2_b32 v85, v13, v33 offset1:81
	ds_write_b32 v85, v29 offset:648
	ds_write2_b32 v86, v23, v27 offset1:81
	v_add_f32_e32 v6, v37, v47
	v_mul_u32_u24_sdwa v7, v115, v7 dst_sel:DWORD dst_unused:UNUSED_PAD src0_sel:WORD_0 src1_sel:DWORD
	v_lshlrev_b32_sdwa v13, v25, v117 dst_sel:DWORD dst_unused:UNUSED_PAD src0_sel:DWORD src1_sel:BYTE_0
	v_fmac_f32_e32 v28, 0x3f5db3d7, v14
	v_add_f32_e32 v14, v22, v37
	v_fmac_f32_e32 v22, -0.5, v6
	v_sub_f32_e32 v6, v92, v71
	v_add3_u32 v87, 0, v7, v13
	v_add_f32_e32 v7, v61, v43
	v_add_f32_e32 v13, v14, v47
	v_lshl_add_u32 v88, v119, 2, 0
	v_fmamk_f32 v14, v6, 0xbf5db3d7, v22
	v_fmac_f32_e32 v22, 0x3f5db3d7, v6
	v_add_f32_e32 v6, v21, v61
	v_fmac_f32_e32 v21, -0.5, v7
	v_sub_f32_e32 v7, v96, v75
	ds_write_b32 v86, v28 offset:648
	ds_write2_b32 v87, v13, v14 offset1:81
	ds_write_b32 v87, v22 offset:648
	v_add_f32_e32 v6, v6, v43
	v_add_nc_u32_e32 v89, 0xa00, v88
	v_fmamk_f32 v13, v7, 0xbf5db3d7, v21
	v_add_f32_e32 v14, v18, v41
	v_mul_u32_u24_e32 v22, 0x3cc, v118
	v_lshlrev_b32_sdwa v23, v25, v120 dst_sel:DWORD dst_unused:UNUSED_PAD src0_sel:DWORD src1_sel:WORD_0
	v_fmac_f32_e32 v21, 0x3f5db3d7, v7
	v_add_f32_e32 v7, v45, v40
	v_add_f32_e32 v26, v20, v18
	ds_write2_b32 v89, v6, v13 offset0:89 offset1:170
	v_fmac_f32_e32 v20, -0.5, v14
	v_sub_f32_e32 v13, v62, v51
	v_add3_u32 v90, 0, v22, v23
	v_add_f32_e32 v14, v19, v45
	v_mul_u32_u24_e32 v22, 0x3cc, v121
	v_lshlrev_b32_sdwa v23, v25, v123 dst_sel:DWORD dst_unused:UNUSED_PAD src0_sel:DWORD src1_sel:WORD_0
	v_fmac_f32_e32 v19, -0.5, v7
	v_sub_f32_e32 v7, v91, v46
	v_add_f32_e32 v6, v26, v41
	v_fmamk_f32 v26, v13, 0xbf5db3d7, v20
	v_fmac_f32_e32 v20, 0x3f5db3d7, v13
	v_add3_u32 v99, 0, v22, v23
	v_add_f32_e32 v13, v14, v40
	v_fmamk_f32 v14, v7, 0xbf5db3d7, v19
	ds_write_b32 v88, v21 offset:3564
	ds_write2_b32 v90, v6, v26 offset1:81
	v_add_f32_e32 v6, v11, v15
	ds_write_b32 v90, v20 offset:648
	ds_write2_b32 v99, v13, v14 offset1:81
	v_add_f32_e32 v13, v17, v39
	v_add_f32_e32 v14, v8, v11
	v_fmac_f32_e32 v8, -0.5, v6
	v_sub_f32_e32 v6, v38, v16
	v_lshlrev_b32_sdwa v22, v25, v124 dst_sel:DWORD dst_unused:UNUSED_PAD src0_sel:DWORD src1_sel:WORD_0
	v_mul_u32_u24_e32 v23, 0x3cc, v122
	v_add_f32_e32 v20, v5, v17
	v_fmac_f32_e32 v5, -0.5, v13
	v_sub_f32_e32 v21, v63, v52
	v_lshl_add_u32 v100, v125, 2, 0
	v_fmac_f32_e32 v19, 0x3f5db3d7, v7
	v_fmamk_f32 v7, v6, 0xbf5db3d7, v8
	v_add3_u32 v101, 0, v23, v22
	v_add_f32_e32 v55, v14, v15
	v_fmac_f32_e32 v8, 0x3f5db3d7, v6
	v_add_f32_e32 v13, v20, v39
	v_fmamk_f32 v14, v21, 0xbf5db3d7, v5
	v_add_nc_u32_e32 v104, 0x1600, v100
	v_fmac_f32_e32 v5, 0x3f5db3d7, v21
	v_add_nc_u32_e32 v106, 0x600, v74
	ds_write_b32 v99, v19 offset:648
	ds_write2_b32 v101, v55, v7 offset1:81
	ds_write_b32 v101, v8 offset:648
	ds_write2_b32 v104, v13, v14 offset0:50 offset1:131
	ds_write_b32 v100, v5 offset:6480
	s_waitcnt lgkmcnt(0)
	s_barrier
	buffer_gl0_inv
	v_add_nc_u32_e32 v105, 0xe00, v74
	v_add_nc_u32_e32 v103, 0x400, v74
	;; [unrolled: 1-line block ×3, first 2 shown]
	ds_read_b32 v58, v84
	ds_read_b32 v57, v24
	ds_read_b32 v59, v74 offset:6336
	ds_read2_b32 v[19:20], v74 offset1:243
	ds_read2_b32 v[21:22], v106 offset0:102 offset1:165
	ds_read2_b32 v[33:34], v78 offset0:100 offset1:217
	;; [unrolled: 1-line block ×8, first 2 shown]
	v_sub_nc_u32_e32 v6, 0, v83
	v_add_nc_u32_e32 v80, v80, v6
	s_and_saveexec_b32 s1, s0
	s_cbranch_execz .LBB0_15
; %bb.14:
	v_add_nc_u32_e32 v5, 0x6c0, v74
	v_add_nc_u32_e32 v6, 0xe40, v74
	;; [unrolled: 1-line block ×3, first 2 shown]
	ds_read_b32 v55, v80
	ds_read2_b32 v[7:8], v5 offset1:243
	ds_read2_b32 v[13:14], v6 offset0:6 offset1:249
	ds_read2_b32 v[5:6], v83 offset0:12 offset1:255
.LBB0_15:
	s_or_b32 exec_lo, exec_lo, s1
	v_add_f32_e32 v83, v98, v64
	v_add_f32_e32 v84, v53, v98
	v_sub_f32_e32 v93, v93, v94
	v_add_f32_e32 v94, v97, v73
	v_sub_f32_e32 v48, v48, v50
	v_fmac_f32_e32 v53, -0.5, v83
	v_add_f32_e32 v83, v49, v97
	v_add_f32_e32 v97, v95, v70
	v_fmac_f32_e32 v49, -0.5, v94
	v_sub_f32_e32 v56, v69, v56
	v_sub_f32_e32 v37, v37, v47
	v_add_f32_e32 v50, v83, v73
	v_add_f32_e32 v73, v60, v95
	v_fmac_f32_e32 v60, -0.5, v97
	v_fmamk_f32 v69, v48, 0x3f5db3d7, v49
	v_fmac_f32_e32 v49, 0xbf5db3d7, v48
	v_add_f32_e32 v83, v54, v92
	v_add_f32_e32 v48, v73, v70
	;; [unrolled: 1-line block ×3, first 2 shown]
	v_fmamk_f32 v73, v56, 0x3f5db3d7, v60
	v_fmac_f32_e32 v60, 0xbf5db3d7, v56
	v_add_f32_e32 v56, v96, v75
	v_sub_f32_e32 v43, v61, v43
	v_fmac_f32_e32 v54, -0.5, v70
	v_add_f32_e32 v70, v44, v96
	v_sub_f32_e32 v18, v18, v41
	v_fmac_f32_e32 v44, -0.5, v56
	v_add_f32_e32 v56, v62, v51
	v_fmamk_f32 v61, v37, 0x3f5db3d7, v54
	v_fmac_f32_e32 v54, 0xbf5db3d7, v37
	v_add_f32_e32 v37, v70, v75
	v_fmamk_f32 v70, v43, 0x3f5db3d7, v44
	v_add_f32_e32 v62, v42, v62
	v_fmac_f32_e32 v44, 0xbf5db3d7, v43
	v_add_f32_e32 v43, v91, v46
	v_fmac_f32_e32 v42, -0.5, v56
	v_sub_f32_e32 v40, v45, v40
	v_add_f32_e32 v41, v62, v51
	v_add_f32_e32 v51, v10, v91
	v_fmac_f32_e32 v10, -0.5, v43
	v_fmamk_f32 v43, v18, 0x3f5db3d7, v42
	v_fmac_f32_e32 v42, 0xbf5db3d7, v18
	v_add_f32_e32 v45, v38, v16
	v_add_f32_e32 v18, v51, v46
	v_fmamk_f32 v46, v40, 0x3f5db3d7, v10
	v_fmac_f32_e32 v10, 0xbf5db3d7, v40
	v_add_f32_e32 v40, v63, v52
	v_add_f32_e32 v64, v84, v64
	v_fmamk_f32 v84, v93, 0x3f5db3d7, v53
	v_add_f32_e32 v38, v12, v38
	v_fmac_f32_e32 v12, -0.5, v45
	v_sub_f32_e32 v15, v11, v15
	v_add_f32_e32 v45, v9, v63
	v_fmac_f32_e32 v9, -0.5, v40
	v_sub_f32_e32 v17, v17, v39
	v_fmac_f32_e32 v53, 0xbf5db3d7, v93
	v_add_f32_e32 v47, v83, v71
	v_add_f32_e32 v56, v38, v16
	v_fmamk_f32 v11, v15, 0x3f5db3d7, v12
	v_fmac_f32_e32 v12, 0xbf5db3d7, v15
	v_add_f32_e32 v15, v45, v52
	v_fmamk_f32 v16, v17, 0x3f5db3d7, v9
	v_fmac_f32_e32 v9, 0xbf5db3d7, v17
	s_waitcnt lgkmcnt(0)
	s_barrier
	buffer_gl0_inv
	ds_write2_b32 v74, v64, v84 offset1:81
	ds_write_b32 v74, v53 offset:648
	ds_write2_b32 v85, v50, v69 offset1:81
	ds_write_b32 v85, v49 offset:648
	;; [unrolled: 2-line block ×4, first 2 shown]
	ds_write2_b32 v89, v37, v70 offset0:89 offset1:170
	ds_write_b32 v88, v44 offset:3564
	ds_write2_b32 v90, v41, v43 offset1:81
	ds_write_b32 v90, v42 offset:648
	ds_write2_b32 v99, v18, v46 offset1:81
	ds_write_b32 v99, v10 offset:648
	ds_write2_b32 v101, v56, v11 offset1:81
	ds_write_b32 v101, v12 offset:648
	ds_write2_b32 v104, v15, v16 offset0:50 offset1:131
	ds_write_b32 v100, v9 offset:6480
	v_add_nc_u32_e32 v10, v72, v82
	v_add_nc_u32_e32 v0, v0, v81
	s_waitcnt lgkmcnt(0)
	s_barrier
	buffer_gl0_inv
	ds_read2_b32 v[37:38], v74 offset1:243
	ds_read2_b32 v[39:40], v106 offset0:102 offset1:165
	ds_read2_b32 v[51:52], v78 offset0:100 offset1:217
	;; [unrolled: 1-line block ×8, first 2 shown]
	ds_read_b32 v61, v10
	ds_read_b32 v60, v0
	ds_read_b32 v62, v74 offset:6336
	s_and_saveexec_b32 s1, s0
	s_cbranch_execz .LBB0_17
; %bb.16:
	v_add_nc_u32_e32 v0, 0x6c0, v74
	v_add_nc_u32_e32 v9, 0xe40, v74
	;; [unrolled: 1-line block ×3, first 2 shown]
	ds_read_b32 v56, v80
	ds_read2_b32 v[11:12], v0 offset1:243
	ds_read2_b32 v[15:16], v9 offset0:6 offset1:249
	ds_read2_b32 v[9:10], v10 offset0:12 offset1:255
.LBB0_17:
	s_or_b32 exec_lo, exec_lo, s1
	s_and_saveexec_b32 s1, vcc_lo
	s_cbranch_execz .LBB0_20
; %bb.18:
	v_mul_i32_i24_e32 v17, 6, v68
	v_mov_b32_e32 v18, 0
	v_mul_u32_u24_e32 v0, 6, v65
	v_lshlrev_b64 v[63:64], 3, v[17:18]
	v_lshlrev_b32_e32 v0, 3, v0
	v_mul_i32_i24_e32 v17, 6, v67
	s_clause 0x2
	global_load_dwordx4 v[69:72], v0, s[8:9] offset:1920
	global_load_dwordx4 v[73:76], v0, s[8:9] offset:1952
	;; [unrolled: 1-line block ×3, first 2 shown]
	v_add_co_u32 v63, vcc_lo, s8, v63
	v_add_co_ci_u32_e32 v64, vcc_lo, s9, v64, vcc_lo
	v_mul_hi_u32 v0, 0x86d90545, v65
	s_clause 0x2
	global_load_dwordx4 v[81:84], v[63:64], off offset:1920
	global_load_dwordx4 v[85:88], v[63:64], off offset:1952
	global_load_dwordx4 v[89:92], v[63:64], off offset:1936
	v_lshlrev_b64 v[63:64], 3, v[17:18]
	v_mul_lo_u32 v17, s5, v3
	v_lshrrev_b32_e32 v0, 7, v0
	v_add_co_u32 v63, vcc_lo, s8, v63
	v_add_co_ci_u32_e32 v64, vcc_lo, s9, v64, vcc_lo
	s_clause 0x2
	global_load_dwordx4 v[93:96], v[63:64], off offset:1920
	global_load_dwordx4 v[97:100], v[63:64], off offset:1952
	;; [unrolled: 1-line block ×3, first 2 shown]
	v_mul_lo_u32 v0, 0xf3, v0
	v_mul_lo_u32 v63, s4, v4
	v_mad_u64_u32 v[3:4], null, s4, v3, 0
	v_sub_nc_u32_e32 v109, v65, v0
	v_lshlrev_b64 v[0:1], 3, v[1:2]
	v_add3_u32 v4, v4, v63, v17
	v_add_nc_u32_e32 v17, 0xf3, v109
	v_mad_u64_u32 v[63:64], null, s2, v109, 0
	v_lshlrev_b64 v[3:4], 3, v[3:4]
	v_add_nc_u32_e32 v110, 0x1e6, v109
	v_mad_u64_u32 v[67:68], null, s2, v17, 0
	v_add_co_u32 v111, vcc_lo, s14, v3
	v_add_co_ci_u32_e32 v4, vcc_lo, s15, v4, vcc_lo
	v_mov_b32_e32 v2, v64
	v_mov_b32_e32 v3, v68
	v_mad_u64_u32 v[105:106], null, s2, v110, 0
	v_add_co_u32 v0, vcc_lo, v111, v0
	v_mad_u64_u32 v[107:108], null, s3, v109, v[2:3]
	v_mad_u64_u32 v[2:3], null, s3, v17, v[3:4]
	v_mov_b32_e32 v3, v106
	v_add_co_ci_u32_e32 v1, vcc_lo, v4, v1, vcc_lo
	v_add_nc_u32_e32 v111, 0x2d9, v109
	v_mov_b32_e32 v64, v107
	v_mov_b32_e32 v68, v2
	v_mad_u64_u32 v[2:3], null, s3, v110, v[3:4]
	v_lshlrev_b64 v[3:4], 3, v[63:64]
	v_mad_u64_u32 v[107:108], null, s2, v111, 0
	v_lshlrev_b64 v[63:64], 3, v[67:68]
	v_add_co_u32 v3, vcc_lo, v0, v3
	v_add_co_ci_u32_e32 v4, vcc_lo, v1, v4, vcc_lo
	v_add_co_u32 v63, vcc_lo, v0, v63
	v_add_co_ci_u32_e32 v64, vcc_lo, v1, v64, vcc_lo
	s_waitcnt vmcnt(8) lgkmcnt(11)
	v_mul_f32_e32 v17, v38, v70
	s_waitcnt vmcnt(7) lgkmcnt(6)
	v_mul_f32_e32 v67, v43, v76
	s_waitcnt vmcnt(6)
	v_mul_f32_e32 v68, v41, v80
	v_mul_f32_e32 v106, v52, v78
	;; [unrolled: 1-line block ×10, first 2 shown]
	v_fmac_f32_e32 v17, v20, v69
	v_fmac_f32_e32 v67, v29, v75
	v_fmac_f32_e32 v68, v23, v79
	v_fmac_f32_e32 v106, v34, v77
	v_fmac_f32_e32 v110, v21, v71
	v_fmac_f32_e32 v112, v36, v73
	v_fma_f32 v20, v43, v75, -v76
	v_fma_f32 v21, v38, v69, -v70
	;; [unrolled: 1-line block ×6, first 2 shown]
	s_waitcnt vmcnt(5) lgkmcnt(5)
	v_mul_f32_e32 v38, v48, v82
	s_waitcnt vmcnt(4) lgkmcnt(0)
	v_mul_f32_e32 v39, v62, v88
	s_waitcnt vmcnt(3)
	v_mul_f32_e32 v41, v53, v92
	v_mul_f32_e32 v43, v50, v90
	;; [unrolled: 1-line block ×10, first 2 shown]
	v_sub_f32_e32 v75, v17, v67
	v_sub_f32_e32 v76, v68, v106
	v_sub_f32_e32 v77, v110, v112
	v_add_f32_e32 v78, v21, v20
	v_add_f32_e32 v79, v29, v23
	v_add_f32_e32 v80, v36, v34
	v_add_f32_e32 v17, v17, v67
	v_add_f32_e32 v67, v68, v106
	v_add_f32_e32 v68, v110, v112
	v_sub_f32_e32 v20, v21, v20
	v_sub_f32_e32 v21, v29, v23
	;; [unrolled: 1-line block ×3, first 2 shown]
	v_fmac_f32_e32 v38, v32, v81
	v_fmac_f32_e32 v39, v59, v87
	;; [unrolled: 1-line block ×6, first 2 shown]
	v_fma_f32 v26, v62, v87, -v69
	v_fma_f32 v28, v48, v81, -v70
	;; [unrolled: 1-line block ×6, first 2 shown]
	s_waitcnt vmcnt(2)
	v_mul_f32_e32 v35, v47, v94
	s_waitcnt vmcnt(1)
	v_mul_f32_e32 v36, v44, v100
	;; [unrolled: 2-line block ×3, first 2 shown]
	v_mul_f32_e32 v48, v49, v102
	v_mul_f32_e32 v50, v40, v96
	v_mul_f32_e32 v51, v45, v98
	v_mul_f32_e32 v53, v30, v100
	v_mul_f32_e32 v59, v31, v94
	v_mul_f32_e32 v70, v25, v98
	v_mul_f32_e32 v71, v22, v96
	v_mul_f32_e32 v62, v27, v102
	v_mul_f32_e32 v69, v24, v104
	v_sub_f32_e32 v72, v75, v76
	v_sub_f32_e32 v73, v76, v77
	v_add_f32_e32 v74, v76, v77
	v_sub_f32_e32 v76, v78, v79
	v_sub_f32_e32 v81, v79, v80
	v_add_f32_e32 v82, v78, v80
	;; [unrolled: 3-line block ×4, first 2 shown]
	v_sub_f32_e32 v77, v77, v75
	v_sub_f32_e32 v78, v80, v78
	;; [unrolled: 1-line block ×7, first 2 shown]
	v_add_f32_e32 v89, v28, v26
	v_add_f32_e32 v91, v34, v33
	;; [unrolled: 1-line block ×5, first 2 shown]
	v_fmac_f32_e32 v35, v31, v93
	v_fmac_f32_e32 v36, v30, v99
	;; [unrolled: 1-line block ×6, first 2 shown]
	v_fma_f32 v22, v44, v99, -v53
	v_fma_f32 v24, v47, v93, -v59
	v_fma_f32 v30, v45, v97, -v70
	v_fma_f32 v31, v40, v95, -v71
	v_add_f32_e32 v90, v32, v29
	v_sub_f32_e32 v26, v28, v26
	v_sub_f32_e32 v28, v32, v29
	;; [unrolled: 1-line block ×3, first 2 shown]
	v_fma_f32 v25, v49, v101, -v62
	v_fma_f32 v27, v42, v103, -v69
	v_mul_f32_e32 v32, 0x3f08b237, v73
	v_mul_f32_e32 v34, 0x3f4a47b2, v76
	;; [unrolled: 1-line block ×3, first 2 shown]
	v_add_f32_e32 v42, v79, v82
	v_mul_f32_e32 v43, 0x3f4a47b2, v83
	v_mul_f32_e32 v44, 0x3d64c772, v84
	v_add_f32_e32 v45, v67, v85
	v_mul_f32_e32 v47, 0x3f08b237, v87
	v_mul_f32_e32 v49, 0xbf5ff5aa, v77
	;; [unrolled: 1-line block ×3, first 2 shown]
	v_sub_f32_e32 v54, v80, v88
	v_add_f32_e32 v59, v80, v88
	v_add_f32_e32 v69, v89, v91
	v_sub_f32_e32 v70, v38, v39
	v_sub_f32_e32 v71, v39, v41
	v_add_f32_e32 v73, v38, v41
	v_sub_f32_e32 v38, v41, v38
	v_sub_f32_e32 v41, v35, v36
	;; [unrolled: 1-line block ×4, first 2 shown]
	v_add_f32_e32 v84, v24, v22
	v_add_f32_e32 v87, v31, v30
	;; [unrolled: 1-line block ×7, first 2 shown]
	v_sub_f32_e32 v62, v89, v90
	v_sub_f32_e32 v67, v90, v91
	;; [unrolled: 1-line block ×4, first 2 shown]
	v_add_f32_e32 v28, v28, v29
	v_sub_f32_e32 v79, v88, v68
	v_sub_f32_e32 v29, v29, v26
	v_add_f32_e32 v85, v27, v25
	v_sub_f32_e32 v24, v24, v22
	v_sub_f32_e32 v22, v27, v25
	;; [unrolled: 1-line block ×3, first 2 shown]
	v_fmamk_f32 v48, v72, 0xbeae86e6, v32
	v_fmamk_f32 v27, v76, 0x3f4a47b2, v40
	v_add_f32_e32 v20, v37, v42
	v_fmamk_f32 v30, v83, 0x3f4a47b2, v44
	v_add_f32_e32 v19, v19, v45
	v_fmamk_f32 v37, v86, 0xbeae86e6, v47
	v_fma_f32 v49, 0x3eae86e6, v72, -v49
	v_fma_f32 v31, 0xbf3bfb3b, v78, -v34
	;; [unrolled: 1-line block ×6, first 2 shown]
	v_mul_f32_e32 v23, 0x3f08b237, v54
	v_add_f32_e32 v44, v68, v59
	v_add_f32_e32 v52, v90, v69
	v_mul_f32_e32 v54, 0x3f4a47b2, v70
	v_mul_f32_e32 v59, 0x3d64c772, v71
	v_add_f32_e32 v39, v39, v73
	v_sub_f32_e32 v69, v41, v81
	v_sub_f32_e32 v71, v81, v82
	v_add_f32_e32 v72, v81, v82
	v_add_f32_e32 v76, v84, v87
	;; [unrolled: 1-line block ×3, first 2 shown]
	v_sub_f32_e32 v53, v68, v80
	v_sub_f32_e32 v80, v91, v89
	v_fma_f32 v40, 0x3f3bfb3b, v78, -v40
	v_fma_f32 v32, 0xbf5ff5aa, v77, -v32
	v_mul_f32_e32 v50, 0x3f4a47b2, v62
	v_mul_f32_e32 v51, 0x3d64c772, v67
	v_mul_f32_e32 v67, 0x3f08b237, v75
	v_add_f32_e32 v26, v26, v28
	v_mul_f32_e32 v28, 0xbf5ff5aa, v79
	v_mul_f32_e32 v68, 0xbf5ff5aa, v29
	v_sub_f32_e32 v73, v84, v85
	v_sub_f32_e32 v75, v85, v87
	;; [unrolled: 1-line block ×6, first 2 shown]
	v_add_f32_e32 v88, v22, v25
	v_sub_f32_e32 v82, v82, v41
	v_sub_f32_e32 v25, v25, v24
	v_fmamk_f32 v42, v42, 0xbf955555, v20
	v_fmamk_f32 v45, v45, 0xbf955555, v19
	v_fmac_f32_e32 v37, 0xbee1c552, v21
	v_fmac_f32_e32 v43, 0xbee1c552, v21
	;; [unrolled: 1-line block ×3, first 2 shown]
	v_add_f32_e32 v22, v61, v52
	v_fmamk_f32 v61, v70, 0x3f4a47b2, v59
	v_add_f32_e32 v21, v58, v39
	v_fma_f32 v54, 0xbf3bfb3b, v38, -v54
	v_fma_f32 v38, 0x3f3bfb3b, v38, -v59
	v_add_f32_e32 v41, v41, v72
	v_add_f32_e32 v59, v85, v76
	;; [unrolled: 1-line block ×3, first 2 shown]
	v_sub_f32_e32 v84, v87, v84
	v_sub_f32_e32 v35, v46, v35
	v_fmac_f32_e32 v48, 0xbee1c552, v33
	v_fmac_f32_e32 v49, 0xbee1c552, v33
	;; [unrolled: 1-line block ×3, first 2 shown]
	v_fmamk_f32 v87, v53, 0xbeae86e6, v23
	v_fmamk_f32 v46, v62, 0x3f4a47b2, v51
	;; [unrolled: 1-line block ×3, first 2 shown]
	v_fma_f32 v53, 0x3eae86e6, v53, -v28
	v_fma_f32 v50, 0xbf3bfb3b, v80, -v50
	;; [unrolled: 1-line block ×6, first 2 shown]
	v_mul_f32_e32 v28, 0x3f08b237, v71
	v_mul_f32_e32 v29, 0x3f4a47b2, v73
	;; [unrolled: 1-line block ×6, first 2 shown]
	v_add_f32_e32 v74, v24, v88
	v_mul_f32_e32 v75, 0xbf5ff5aa, v82
	v_mul_f32_e32 v76, 0xbf5ff5aa, v25
	v_add_f32_e32 v78, v27, v42
	v_add_f32_e32 v80, v31, v42
	;; [unrolled: 1-line block ×5, first 2 shown]
	v_fmamk_f32 v40, v52, 0xbf955555, v22
	v_fmamk_f32 v39, v39, 0xbf955555, v21
	v_add_f32_e32 v24, v60, v59
	v_add_f32_e32 v23, v57, v72
	;; [unrolled: 1-line block ×3, first 2 shown]
	v_fmac_f32_e32 v87, 0xbee1c552, v44
	v_fmac_f32_e32 v58, 0xbee1c552, v26
	;; [unrolled: 1-line block ×6, first 2 shown]
	v_fmamk_f32 v85, v69, 0xbeae86e6, v28
	v_fmamk_f32 v52, v73, 0x3f4a47b2, v33
	;; [unrolled: 1-line block ×4, first 2 shown]
	v_fma_f32 v69, 0x3eae86e6, v69, -v75
	v_fma_f32 v57, 0xbf3bfb3b, v84, -v29
	;; [unrolled: 1-line block ×8, first 2 shown]
	v_add_f32_e32 v26, v48, v78
	v_add_f32_e32 v28, v49, v80
	v_sub_f32_e32 v27, v81, v43
	v_sub_f32_e32 v30, v31, v32
	v_add_f32_e32 v29, v47, v17
	v_add_f32_e32 v32, v32, v31
	v_sub_f32_e32 v31, v17, v47
	v_sub_f32_e32 v34, v80, v49
	v_add_f32_e32 v33, v43, v81
	v_sub_f32_e32 v36, v78, v48
	v_add_f32_e32 v17, v46, v40
	v_add_f32_e32 v45, v50, v40
	;; [unrolled: 1-line block ×5, first 2 shown]
	v_fmamk_f32 v49, v59, 0xbf955555, v24
	v_fmamk_f32 v50, v72, 0xbf955555, v23
	v_add_f32_e32 v47, v61, v39
	v_fmac_f32_e32 v85, 0xbee1c552, v41
	v_fmac_f32_e32 v69, 0xbee1c552, v41
	;; [unrolled: 1-line block ×5, first 2 shown]
	v_add_f32_e32 v38, v87, v17
	v_add_f32_e32 v40, v53, v45
	v_sub_f32_e32 v39, v48, v62
	v_sub_f32_e32 v42, v43, v68
	v_add_f32_e32 v41, v67, v46
	v_add_f32_e32 v44, v68, v43
	v_sub_f32_e32 v43, v46, v67
	v_sub_f32_e32 v46, v45, v53
	v_add_f32_e32 v45, v62, v48
	v_sub_f32_e32 v48, v17, v87
	v_add_f32_e32 v17, v52, v49
	v_add_f32_e32 v61, v60, v50
	;; [unrolled: 1-line block ×6, first 2 shown]
	v_sub_f32_e32 v25, v79, v37
	v_add_f32_e32 v35, v37, v79
	v_sub_f32_e32 v37, v47, v58
	v_add_f32_e32 v47, v58, v47
	v_add_f32_e32 v50, v85, v17
	;; [unrolled: 1-line block ×3, first 2 shown]
	v_sub_f32_e32 v51, v62, v75
	v_sub_f32_e32 v54, v57, v77
	v_add_f32_e32 v53, v82, v60
	v_add_f32_e32 v58, v77, v57
	v_sub_f32_e32 v57, v60, v82
	v_sub_f32_e32 v60, v59, v69
	v_add_f32_e32 v59, v75, v62
	v_sub_f32_e32 v62, v17, v85
	v_mov_b32_e32 v17, v108
	v_add_nc_u32_e32 v71, 63, v65
	global_store_dwordx2 v[3:4], v[19:20], off
	global_store_dwordx2 v[63:64], v[35:36], off
	v_fmac_f32_e32 v73, 0xbee1c552, v74
	v_add_nc_u32_e32 v74, 0x5b2, v109
	v_mad_u64_u32 v[67:68], null, s3, v111, v[17:18]
	v_add_nc_u32_e32 v68, 0x3cc, v109
	v_mul_hi_u32 v17, 0x86d90545, v71
	v_sub_f32_e32 v49, v61, v73
	v_add_f32_e32 v61, v73, v61
	v_add_nc_u32_e32 v73, 0x4bf, v109
	v_mad_u64_u32 v[19:20], null, s2, v68, 0
	v_mov_b32_e32 v108, v67
	v_mov_b32_e32 v106, v2
	v_lshrrev_b32_e32 v72, 7, v17
	v_mad_u64_u32 v[69:70], null, s2, v74, 0
	v_lshlrev_b64 v[35:36], 3, v[107:108]
	v_mov_b32_e32 v4, v20
	v_mul_lo_u32 v17, 0xf3, v72
	v_lshlrev_b64 v[2:3], 3, v[105:106]
	v_mad_u64_u32 v[63:64], null, s3, v68, v[4:5]
	v_mad_u64_u32 v[67:68], null, s2, v73, 0
	v_sub_nc_u32_e32 v4, v71, v17
	v_add_co_u32 v2, vcc_lo, v0, v2
	v_add_co_ci_u32_e32 v3, vcc_lo, v1, v3, vcc_lo
	v_mov_b32_e32 v20, v63
	v_mov_b32_e32 v17, v68
	v_mad_u64_u32 v[63:64], null, 0x6a5, v72, v[4:5]
	v_mov_b32_e32 v4, v70
	v_add_co_u32 v35, vcc_lo, v0, v35
	v_mad_u64_u32 v[70:71], null, s3, v73, v[17:18]
	v_add_co_ci_u32_e32 v36, vcc_lo, v1, v36, vcc_lo
	v_mad_u64_u32 v[71:72], null, s3, v74, v[4:5]
	v_lshlrev_b64 v[19:20], 3, v[19:20]
	v_mad_u64_u32 v[72:73], null, s2, v63, 0
	v_mov_b32_e32 v68, v70
	global_store_dwordx2 v[2:3], v[33:34], off
	global_store_dwordx2 v[35:36], v[31:32], off
	v_add_nc_u32_e32 v35, 0xf3, v63
	v_add_co_u32 v19, vcc_lo, v0, v19
	v_lshlrev_b64 v[3:4], 3, v[67:68]
	v_add_co_ci_u32_e32 v20, vcc_lo, v1, v20, vcc_lo
	v_mov_b32_e32 v2, v73
	v_add_nc_u32_e32 v36, 0x1e6, v63
	v_mad_u64_u32 v[31:32], null, s2, v35, 0
	global_store_dwordx2 v[19:20], v[29:30], off
	v_mov_b32_e32 v70, v71
	v_mad_u64_u32 v[19:20], null, s3, v63, v[2:3]
	v_mad_u64_u32 v[33:34], null, s2, v36, 0
	v_add_co_u32 v2, vcc_lo, v0, v3
	v_add_co_ci_u32_e32 v3, vcc_lo, v1, v4, vcc_lo
	v_mov_b32_e32 v4, v32
	v_lshlrev_b64 v[29:30], 3, v[69:70]
	v_add_nc_u32_e32 v64, 0x2d9, v63
	v_mov_b32_e32 v73, v19
	v_mov_b32_e32 v17, v34
	v_mad_u64_u32 v[34:35], null, s3, v35, v[4:5]
	v_add_co_u32 v19, vcc_lo, v0, v29
	v_mad_u64_u32 v[67:68], null, s2, v64, 0
	v_add_co_ci_u32_e32 v20, vcc_lo, v1, v30, vcc_lo
	v_lshlrev_b64 v[29:30], 3, v[72:73]
	v_mov_b32_e32 v32, v34
	v_mad_u64_u32 v[35:36], null, s3, v36, v[17:18]
	v_mov_b32_e32 v4, v68
	global_store_dwordx2 v[2:3], v[27:28], off
	v_add_co_u32 v29, vcc_lo, v0, v29
	v_add_co_ci_u32_e32 v30, vcc_lo, v1, v30, vcc_lo
	v_lshlrev_b64 v[2:3], 3, v[31:32]
	v_add_nc_u32_e32 v17, 0x3cc, v63
	v_add_nc_u32_e32 v32, 0x7e, v65
	global_store_dwordx2 v[19:20], v[25:26], off
	global_store_dwordx2 v[29:30], v[23:24], off
	v_mad_u64_u32 v[23:24], null, s3, v64, v[4:5]
	v_mad_u64_u32 v[24:25], null, s2, v17, 0
	v_mul_hi_u32 v26, 0x86d90545, v32
	v_mov_b32_e32 v34, v35
	v_add_co_u32 v2, vcc_lo, v0, v2
	v_mov_b32_e32 v68, v23
	v_add_co_ci_u32_e32 v3, vcc_lo, v1, v3, vcc_lo
	v_mov_b32_e32 v4, v25
	v_lshrrev_b32_e32 v23, 7, v26
	v_lshlrev_b64 v[19:20], 3, v[33:34]
	v_add_nc_u32_e32 v34, 0x4bf, v63
	v_lshlrev_b64 v[25:26], 3, v[67:68]
	v_mad_u64_u32 v[27:28], null, s3, v17, v[4:5]
	v_mul_lo_u32 v4, 0xf3, v23
	v_mad_u64_u32 v[28:29], null, s2, v34, 0
	v_add_co_u32 v19, vcc_lo, v0, v19
	v_add_nc_u32_e32 v35, 0x5b2, v63
	v_add_co_ci_u32_e32 v20, vcc_lo, v1, v20, vcc_lo
	v_sub_nc_u32_e32 v4, v32, v4
	v_add_co_u32 v30, vcc_lo, v0, v25
	v_add_co_ci_u32_e32 v31, vcc_lo, v1, v26, vcc_lo
	v_mad_u64_u32 v[32:33], null, 0x6a5, v23, v[4:5]
	v_mov_b32_e32 v25, v27
	v_mov_b32_e32 v17, v29
	v_mad_u64_u32 v[26:27], null, s2, v35, 0
	global_store_dwordx2 v[2:3], v[61:62], off
	global_store_dwordx2 v[19:20], v[59:60], off
	;; [unrolled: 1-line block ×3, first 2 shown]
	v_lshlrev_b64 v[2:3], 3, v[24:25]
	v_mad_u64_u32 v[33:34], null, s3, v34, v[17:18]
	v_mad_u64_u32 v[19:20], null, s2, v32, 0
	v_mov_b32_e32 v4, v27
	v_add_nc_u32_e32 v17, 0xf3, v32
	v_add_co_u32 v2, vcc_lo, v0, v2
	v_mov_b32_e32 v29, v33
	v_mad_u64_u32 v[23:24], null, s3, v35, v[4:5]
	v_mov_b32_e32 v4, v20
	v_add_co_ci_u32_e32 v3, vcc_lo, v1, v3, vcc_lo
	v_lshlrev_b64 v[24:25], 3, v[28:29]
	v_add_nc_u32_e32 v31, 0x2d9, v32
	v_mad_u64_u32 v[28:29], null, s3, v32, v[4:5]
	v_mad_u64_u32 v[29:30], null, s2, v17, 0
	v_mov_b32_e32 v27, v23
	v_add_co_u32 v23, vcc_lo, v0, v24
	global_store_dwordx2 v[2:3], v[53:54], off
	v_add_co_ci_u32_e32 v24, vcc_lo, v1, v25, vcc_lo
	v_mov_b32_e32 v4, v30
	v_lshlrev_b64 v[2:3], 3, v[26:27]
	v_mov_b32_e32 v20, v28
	v_add_nc_u32_e32 v28, 0x1e6, v32
	global_store_dwordx2 v[23:24], v[51:52], off
	v_mad_u64_u32 v[25:26], null, s3, v17, v[4:5]
	v_add_co_u32 v2, vcc_lo, v0, v2
	v_lshlrev_b64 v[19:20], 3, v[19:20]
	v_mad_u64_u32 v[26:27], null, s2, v28, 0
	v_add_co_ci_u32_e32 v3, vcc_lo, v1, v3, vcc_lo
	v_mov_b32_e32 v30, v25
	v_add_co_u32 v19, vcc_lo, v0, v19
	global_store_dwordx2 v[2:3], v[49:50], off
	v_add_co_ci_u32_e32 v20, vcc_lo, v1, v20, vcc_lo
	v_lshlrev_b64 v[3:4], 3, v[29:30]
	v_mov_b32_e32 v2, v27
	v_add_nc_u32_e32 v30, 0x4bf, v32
	global_store_dwordx2 v[19:20], v[21:22], off
	v_mad_u64_u32 v[19:20], null, s3, v28, v[2:3]
	v_add_nc_u32_e32 v28, 0x3cc, v32
	v_add_co_u32 v2, vcc_lo, v0, v3
	v_mad_u64_u32 v[20:21], null, s2, v31, 0
	v_add_co_ci_u32_e32 v3, vcc_lo, v1, v4, vcc_lo
	v_mad_u64_u32 v[22:23], null, s2, v28, 0
	v_mov_b32_e32 v27, v19
	global_store_dwordx2 v[2:3], v[47:48], off
	v_mad_u64_u32 v[3:4], null, s2, v30, 0
	v_mov_b32_e32 v2, v21
	v_add_nc_u32_e32 v32, 0x5b2, v32
	v_mov_b32_e32 v17, v23
	v_lshlrev_b64 v[24:25], 3, v[26:27]
	v_mad_u64_u32 v[26:27], null, s3, v31, v[2:3]
	v_mad_u64_u32 v[27:28], null, s3, v28, v[17:18]
	;; [unrolled: 1-line block ×3, first 2 shown]
	v_mov_b32_e32 v2, v4
	v_add_co_u32 v24, vcc_lo, v0, v24
	v_add_co_ci_u32_e32 v25, vcc_lo, v1, v25, vcc_lo
	v_mad_u64_u32 v[30:31], null, s3, v30, v[2:3]
	v_mov_b32_e32 v2, v29
	v_mov_b32_e32 v21, v26
	global_store_dwordx2 v[24:25], v[45:46], off
	v_mov_b32_e32 v23, v27
	v_mad_u64_u32 v[24:25], null, s3, v32, v[2:3]
	v_lshlrev_b64 v[19:20], 3, v[20:21]
	v_mov_b32_e32 v4, v30
	v_lshlrev_b64 v[21:22], 3, v[22:23]
	v_mov_b32_e32 v29, v24
	v_add_co_u32 v19, vcc_lo, v0, v19
	v_lshlrev_b64 v[2:3], 3, v[3:4]
	v_add_co_ci_u32_e32 v20, vcc_lo, v1, v20, vcc_lo
	v_add_co_u32 v21, vcc_lo, v0, v21
	v_lshlrev_b64 v[23:24], 3, v[28:29]
	v_add_co_ci_u32_e32 v22, vcc_lo, v1, v22, vcc_lo
	v_add_co_u32 v25, vcc_lo, v0, v2
	v_add_nc_u32_e32 v2, 0xbd, v65
	v_add_co_ci_u32_e32 v26, vcc_lo, v1, v3, vcc_lo
	v_add_co_u32 v3, vcc_lo, v0, v23
	v_add_co_ci_u32_e32 v4, vcc_lo, v1, v24, vcc_lo
	v_cmp_gt_u32_e32 vcc_lo, 0xf3, v2
	global_store_dwordx2 v[19:20], v[43:44], off
	global_store_dwordx2 v[21:22], v[41:42], off
	;; [unrolled: 1-line block ×4, first 2 shown]
	s_and_b32 exec_lo, exec_lo, vcc_lo
	s_cbranch_execz .LBB0_20
; %bb.19:
	v_subrev_nc_u32_e32 v3, 54, v65
	v_add_nc_u32_e32 v43, 0x1b0, v65
	v_add_nc_u32_e32 v44, 0x2a3, v65
	;; [unrolled: 1-line block ×4, first 2 shown]
	v_cndmask_b32_e64 v3, v3, v66, s0
	v_mad_u64_u32 v[29:30], null, s2, v43, 0
	v_mad_u64_u32 v[31:32], null, s2, v44, 0
	v_mul_i32_i24_e32 v17, 6, v3
	v_mad_u64_u32 v[33:34], null, s2, v45, 0
	v_add_nc_u32_e32 v47, 0x57c, v65
	v_mad_u64_u32 v[35:36], null, s2, v46, 0
	v_lshlrev_b64 v[3:4], 3, v[17:18]
	v_add_nc_u32_e32 v48, 0x66f, v65
	v_mad_u64_u32 v[37:38], null, s2, v47, 0
	v_mad_u64_u32 v[39:40], null, s2, v48, 0
	v_add_co_u32 v3, vcc_lo, s8, v3
	v_add_co_ci_u32_e32 v4, vcc_lo, s9, v4, vcc_lo
	s_clause 0x2
	global_load_dwordx4 v[17:20], v[3:4], off offset:1920
	global_load_dwordx4 v[21:24], v[3:4], off offset:1936
	;; [unrolled: 1-line block ×3, first 2 shown]
	v_mad_u64_u32 v[3:4], null, s2, v2, 0
	v_mad_u64_u32 v[41:42], null, s3, v2, v[4:5]
	v_mov_b32_e32 v2, v30
	v_mov_b32_e32 v4, v32
	;; [unrolled: 1-line block ×5, first 2 shown]
	v_mad_u64_u32 v[42:43], null, s3, v43, v[2:3]
	v_mad_u64_u32 v[43:44], null, s3, v44, v[4:5]
	v_mov_b32_e32 v4, v41
	v_mad_u64_u32 v[44:45], null, s3, v45, v[30:31]
	v_mad_u64_u32 v[45:46], null, s3, v46, v[32:33]
	v_mov_b32_e32 v30, v42
	v_mov_b32_e32 v36, v40
	v_lshlrev_b64 v[2:3], 3, v[3:4]
	v_mov_b32_e32 v32, v43
	v_mad_u64_u32 v[40:41], null, s3, v47, v[34:35]
	v_lshlrev_b64 v[29:30], 3, v[29:30]
	v_mov_b32_e32 v34, v44
	v_mad_u64_u32 v[46:47], null, s3, v48, v[36:37]
	v_lshlrev_b64 v[31:32], 3, v[31:32]
	v_add_co_u32 v2, vcc_lo, v0, v2
	v_mov_b32_e32 v36, v45
	v_add_co_ci_u32_e32 v3, vcc_lo, v1, v3, vcc_lo
	v_lshlrev_b64 v[33:34], 3, v[33:34]
	v_add_co_u32 v29, vcc_lo, v0, v29
	v_mov_b32_e32 v38, v40
	v_add_co_ci_u32_e32 v30, vcc_lo, v1, v30, vcc_lo
	;; [unrolled: 4-line block ×3, first 2 shown]
	v_lshlrev_b64 v[37:38], 3, v[37:38]
	v_add_co_u32 v33, vcc_lo, v0, v33
	v_add_co_ci_u32_e32 v34, vcc_lo, v1, v34, vcc_lo
	v_lshlrev_b64 v[39:40], 3, v[39:40]
	v_add_co_u32 v35, vcc_lo, v0, v35
	v_add_co_ci_u32_e32 v36, vcc_lo, v1, v36, vcc_lo
	v_add_co_u32 v37, vcc_lo, v0, v37
	v_add_co_ci_u32_e32 v38, vcc_lo, v1, v38, vcc_lo
	;; [unrolled: 2-line block ×3, first 2 shown]
	s_waitcnt vmcnt(2)
	v_mul_f32_e32 v4, v11, v18
	v_mul_f32_e32 v18, v7, v18
	;; [unrolled: 1-line block ×4, first 2 shown]
	s_waitcnt vmcnt(0)
	v_mul_f32_e32 v42, v9, v26
	v_mul_f32_e32 v26, v5, v26
	;; [unrolled: 1-line block ×8, first 2 shown]
	v_fmac_f32_e32 v4, v7, v17
	v_fma_f32 v7, v11, v17, -v18
	v_fmac_f32_e32 v39, v8, v19
	v_fma_f32 v8, v12, v19, -v20
	;; [unrolled: 2-line block ×6, first 2 shown]
	v_add_f32_e32 v9, v4, v43
	v_add_f32_e32 v12, v7, v6
	v_sub_f32_e32 v6, v7, v6
	v_add_f32_e32 v7, v39, v42
	v_add_f32_e32 v13, v8, v5
	v_sub_f32_e32 v4, v4, v43
	v_sub_f32_e32 v14, v39, v42
	;; [unrolled: 1-line block ×3, first 2 shown]
	v_add_f32_e32 v8, v40, v41
	v_add_f32_e32 v15, v11, v10
	v_sub_f32_e32 v16, v41, v40
	v_sub_f32_e32 v10, v10, v11
	v_add_f32_e32 v11, v7, v9
	v_add_f32_e32 v17, v13, v12
	v_sub_f32_e32 v18, v7, v9
	v_sub_f32_e32 v19, v13, v12
	v_sub_f32_e32 v9, v9, v8
	v_sub_f32_e32 v12, v12, v15
	v_sub_f32_e32 v7, v8, v7
	v_sub_f32_e32 v13, v15, v13
	v_add_f32_e32 v20, v16, v14
	v_add_f32_e32 v21, v10, v5
	v_sub_f32_e32 v22, v16, v14
	v_sub_f32_e32 v23, v10, v5
	;; [unrolled: 1-line block ×3, first 2 shown]
	v_add_f32_e32 v8, v8, v11
	v_add_f32_e32 v11, v15, v17
	v_sub_f32_e32 v24, v5, v6
	v_sub_f32_e32 v16, v4, v16
	;; [unrolled: 1-line block ×3, first 2 shown]
	v_add_f32_e32 v15, v20, v4
	v_add_f32_e32 v6, v21, v6
	v_mul_f32_e32 v9, 0x3f4a47b2, v9
	v_mul_f32_e32 v12, 0x3f4a47b2, v12
	;; [unrolled: 1-line block ×7, first 2 shown]
	v_add_f32_e32 v4, v55, v8
	v_add_f32_e32 v5, v56, v11
	v_mul_f32_e32 v25, 0xbf5ff5aa, v24
	v_fmamk_f32 v7, v7, 0x3d64c772, v9
	v_fmamk_f32 v13, v13, 0x3d64c772, v12
	v_fma_f32 v17, 0x3f3bfb3b, v18, -v17
	v_fma_f32 v20, 0x3f3bfb3b, v19, -v20
	;; [unrolled: 1-line block ×4, first 2 shown]
	v_fmamk_f32 v18, v16, 0xbeae86e6, v21
	v_fmamk_f32 v19, v10, 0xbeae86e6, v22
	v_fma_f32 v14, 0xbf5ff5aa, v14, -v21
	v_fma_f32 v16, 0x3eae86e6, v16, -v23
	v_fmamk_f32 v8, v8, 0xbf955555, v4
	v_fmamk_f32 v11, v11, 0xbf955555, v5
	v_fma_f32 v10, 0x3eae86e6, v10, -v25
	v_fma_f32 v21, 0xbf5ff5aa, v24, -v22
	v_fmac_f32_e32 v18, 0xbee1c552, v15
	v_fmac_f32_e32 v19, 0xbee1c552, v6
	;; [unrolled: 1-line block ×4, first 2 shown]
	v_add_f32_e32 v15, v7, v8
	v_add_f32_e32 v13, v13, v11
	v_fmac_f32_e32 v10, 0xbee1c552, v6
	v_add_f32_e32 v22, v9, v8
	v_add_f32_e32 v12, v12, v11
	v_fmac_f32_e32 v21, 0xbee1c552, v6
	v_add_f32_e32 v17, v17, v8
	v_add_f32_e32 v9, v20, v11
	global_store_dwordx2 v[2:3], v[4:5], off
	v_add_f32_e32 v2, v19, v15
	v_sub_f32_e32 v3, v13, v18
	v_add_f32_e32 v4, v10, v22
	v_sub_f32_e32 v5, v12, v16
	v_sub_f32_e32 v6, v17, v21
	v_add_f32_e32 v7, v14, v9
	v_add_f32_e32 v8, v21, v17
	v_sub_f32_e32 v9, v9, v14
	v_sub_f32_e32 v10, v22, v10
	v_add_f32_e32 v11, v16, v12
	v_sub_f32_e32 v12, v15, v19
	v_add_f32_e32 v13, v18, v13
	global_store_dwordx2 v[29:30], v[2:3], off
	global_store_dwordx2 v[31:32], v[4:5], off
	;; [unrolled: 1-line block ×6, first 2 shown]
.LBB0_20:
	s_endpgm
	.section	.rodata,"a",@progbits
	.p2align	6, 0x0
	.amdhsa_kernel fft_rtc_back_len1701_factors_3_3_3_3_3_7_wgs_63_tpt_63_halfLds_sp_op_CI_CI_sbrr_dirReg
		.amdhsa_group_segment_fixed_size 0
		.amdhsa_private_segment_fixed_size 0
		.amdhsa_kernarg_size 104
		.amdhsa_user_sgpr_count 6
		.amdhsa_user_sgpr_private_segment_buffer 1
		.amdhsa_user_sgpr_dispatch_ptr 0
		.amdhsa_user_sgpr_queue_ptr 0
		.amdhsa_user_sgpr_kernarg_segment_ptr 1
		.amdhsa_user_sgpr_dispatch_id 0
		.amdhsa_user_sgpr_flat_scratch_init 0
		.amdhsa_user_sgpr_private_segment_size 0
		.amdhsa_wavefront_size32 1
		.amdhsa_uses_dynamic_stack 0
		.amdhsa_system_sgpr_private_segment_wavefront_offset 0
		.amdhsa_system_sgpr_workgroup_id_x 1
		.amdhsa_system_sgpr_workgroup_id_y 0
		.amdhsa_system_sgpr_workgroup_id_z 0
		.amdhsa_system_sgpr_workgroup_info 0
		.amdhsa_system_vgpr_workitem_id 0
		.amdhsa_next_free_vgpr 132
		.amdhsa_next_free_sgpr 31
		.amdhsa_reserve_vcc 1
		.amdhsa_reserve_flat_scratch 0
		.amdhsa_float_round_mode_32 0
		.amdhsa_float_round_mode_16_64 0
		.amdhsa_float_denorm_mode_32 3
		.amdhsa_float_denorm_mode_16_64 3
		.amdhsa_dx10_clamp 1
		.amdhsa_ieee_mode 1
		.amdhsa_fp16_overflow 0
		.amdhsa_workgroup_processor_mode 1
		.amdhsa_memory_ordered 1
		.amdhsa_forward_progress 0
		.amdhsa_shared_vgpr_count 0
		.amdhsa_exception_fp_ieee_invalid_op 0
		.amdhsa_exception_fp_denorm_src 0
		.amdhsa_exception_fp_ieee_div_zero 0
		.amdhsa_exception_fp_ieee_overflow 0
		.amdhsa_exception_fp_ieee_underflow 0
		.amdhsa_exception_fp_ieee_inexact 0
		.amdhsa_exception_int_div_zero 0
	.end_amdhsa_kernel
	.text
.Lfunc_end0:
	.size	fft_rtc_back_len1701_factors_3_3_3_3_3_7_wgs_63_tpt_63_halfLds_sp_op_CI_CI_sbrr_dirReg, .Lfunc_end0-fft_rtc_back_len1701_factors_3_3_3_3_3_7_wgs_63_tpt_63_halfLds_sp_op_CI_CI_sbrr_dirReg
                                        ; -- End function
	.section	.AMDGPU.csdata,"",@progbits
; Kernel info:
; codeLenInByte = 18776
; NumSgprs: 33
; NumVgprs: 132
; ScratchSize: 0
; MemoryBound: 0
; FloatMode: 240
; IeeeMode: 1
; LDSByteSize: 0 bytes/workgroup (compile time only)
; SGPRBlocks: 4
; VGPRBlocks: 16
; NumSGPRsForWavesPerEU: 33
; NumVGPRsForWavesPerEU: 132
; Occupancy: 7
; WaveLimiterHint : 1
; COMPUTE_PGM_RSRC2:SCRATCH_EN: 0
; COMPUTE_PGM_RSRC2:USER_SGPR: 6
; COMPUTE_PGM_RSRC2:TRAP_HANDLER: 0
; COMPUTE_PGM_RSRC2:TGID_X_EN: 1
; COMPUTE_PGM_RSRC2:TGID_Y_EN: 0
; COMPUTE_PGM_RSRC2:TGID_Z_EN: 0
; COMPUTE_PGM_RSRC2:TIDIG_COMP_CNT: 0
	.text
	.p2alignl 6, 3214868480
	.fill 48, 4, 3214868480
	.type	__hip_cuid_3aa1f6a64bab7c55,@object ; @__hip_cuid_3aa1f6a64bab7c55
	.section	.bss,"aw",@nobits
	.globl	__hip_cuid_3aa1f6a64bab7c55
__hip_cuid_3aa1f6a64bab7c55:
	.byte	0                               ; 0x0
	.size	__hip_cuid_3aa1f6a64bab7c55, 1

	.ident	"AMD clang version 19.0.0git (https://github.com/RadeonOpenCompute/llvm-project roc-6.4.0 25133 c7fe45cf4b819c5991fe208aaa96edf142730f1d)"
	.section	".note.GNU-stack","",@progbits
	.addrsig
	.addrsig_sym __hip_cuid_3aa1f6a64bab7c55
	.amdgpu_metadata
---
amdhsa.kernels:
  - .args:
      - .actual_access:  read_only
        .address_space:  global
        .offset:         0
        .size:           8
        .value_kind:     global_buffer
      - .offset:         8
        .size:           8
        .value_kind:     by_value
      - .actual_access:  read_only
        .address_space:  global
        .offset:         16
        .size:           8
        .value_kind:     global_buffer
      - .actual_access:  read_only
        .address_space:  global
        .offset:         24
        .size:           8
        .value_kind:     global_buffer
      - .actual_access:  read_only
        .address_space:  global
        .offset:         32
        .size:           8
        .value_kind:     global_buffer
      - .offset:         40
        .size:           8
        .value_kind:     by_value
      - .actual_access:  read_only
        .address_space:  global
        .offset:         48
        .size:           8
        .value_kind:     global_buffer
      - .actual_access:  read_only
        .address_space:  global
        .offset:         56
        .size:           8
        .value_kind:     global_buffer
      - .offset:         64
        .size:           4
        .value_kind:     by_value
      - .actual_access:  read_only
        .address_space:  global
        .offset:         72
        .size:           8
        .value_kind:     global_buffer
      - .actual_access:  read_only
        .address_space:  global
        .offset:         80
        .size:           8
        .value_kind:     global_buffer
      - .actual_access:  read_only
        .address_space:  global
        .offset:         88
        .size:           8
        .value_kind:     global_buffer
      - .actual_access:  write_only
        .address_space:  global
        .offset:         96
        .size:           8
        .value_kind:     global_buffer
    .group_segment_fixed_size: 0
    .kernarg_segment_align: 8
    .kernarg_segment_size: 104
    .language:       OpenCL C
    .language_version:
      - 2
      - 0
    .max_flat_workgroup_size: 63
    .name:           fft_rtc_back_len1701_factors_3_3_3_3_3_7_wgs_63_tpt_63_halfLds_sp_op_CI_CI_sbrr_dirReg
    .private_segment_fixed_size: 0
    .sgpr_count:     33
    .sgpr_spill_count: 0
    .symbol:         fft_rtc_back_len1701_factors_3_3_3_3_3_7_wgs_63_tpt_63_halfLds_sp_op_CI_CI_sbrr_dirReg.kd
    .uniform_work_group_size: 1
    .uses_dynamic_stack: false
    .vgpr_count:     132
    .vgpr_spill_count: 0
    .wavefront_size: 32
    .workgroup_processor_mode: 1
amdhsa.target:   amdgcn-amd-amdhsa--gfx1030
amdhsa.version:
  - 1
  - 2
...

	.end_amdgpu_metadata
